;; amdgpu-corpus repo=ROCm/rocFFT kind=compiled arch=gfx906 opt=O3
	.text
	.amdgcn_target "amdgcn-amd-amdhsa--gfx906"
	.amdhsa_code_object_version 6
	.protected	bluestein_single_back_len8192_dim1_half_op_CI_CI ; -- Begin function bluestein_single_back_len8192_dim1_half_op_CI_CI
	.globl	bluestein_single_back_len8192_dim1_half_op_CI_CI
	.p2align	8
	.type	bluestein_single_back_len8192_dim1_half_op_CI_CI,@function
bluestein_single_back_len8192_dim1_half_op_CI_CI: ; @bluestein_single_back_len8192_dim1_half_op_CI_CI
; %bb.0:
	s_load_dwordx4 s[12:15], s[4:5], 0x28
	s_mov_b32 s7, 0
	s_waitcnt lgkmcnt(0)
	v_mov_b32_e32 v1, s12
	v_mov_b32_e32 v2, s13
	v_cmp_lt_u64_e32 vcc, s[6:7], v[1:2]
	s_and_saveexec_b64 s[0:1], vcc
	s_cbranch_execz .LBB0_2
; %bb.1:
	s_load_dwordx4 s[0:3], s[4:5], 0x18
	s_load_dwordx4 s[8:11], s[4:5], 0x0
	v_mov_b32_e32 v34, s7
	v_mov_b32_e32 v33, s6
	;; [unrolled: 1-line block ×3, first 2 shown]
	s_waitcnt lgkmcnt(0)
	s_load_dwordx4 s[16:19], s[0:1], 0x0
	s_add_u32 s6, s8, 0x8000
	s_addc_u32 s7, s9, 0
	v_lshlrev_b32_e32 v34, 2, v0
	v_or_b32_e32 v51, 0x1000, v34
	s_waitcnt lgkmcnt(0)
	v_mad_u64_u32 v[1:2], s[0:1], s18, v33, 0
	v_mad_u64_u32 v[3:4], s[0:1], s16, v0, 0
	s_lshl_b64 s[12:13], s[16:17], 11
	v_or_b32_e32 v52, 0x1800, v34
	v_mad_u64_u32 v[5:6], s[0:1], s19, v33, v[2:3]
	v_or_b32_e32 v53, 0x2000, v34
	v_or_b32_e32 v54, 0x2800, v34
	v_mad_u64_u32 v[6:7], s[0:1], s17, v0, v[4:5]
	v_mov_b32_e32 v2, v5
	v_lshlrev_b64 v[1:2], 2, v[1:2]
	v_mov_b32_e32 v4, v6
	v_add_co_u32_e32 v5, vcc, s14, v1
	v_addc_co_u32_e32 v6, vcc, v8, v2, vcc
	v_lshlrev_b64 v[1:2], 2, v[3:4]
	v_or_b32_e32 v55, 0x3000, v34
	v_add_co_u32_e32 v3, vcc, v5, v1
	v_addc_co_u32_e32 v4, vcc, v6, v2, vcc
	global_load_dword v5, v[3:4], off
	v_mov_b32_e32 v1, s13
	v_add_co_u32_e32 v2, vcc, s12, v3
	v_addc_co_u32_e32 v3, vcc, v4, v1, vcc
	global_load_dword v40, v34, s[8:9]
	global_load_dword v4, v[2:3], off
	global_load_dword v37, v34, s[8:9] offset:2048
	v_add_co_u32_e32 v2, vcc, s12, v2
	v_addc_co_u32_e32 v3, vcc, v3, v1, vcc
	global_load_dword v6, v[2:3], off
	global_load_dword v36, v51, s[8:9]
	v_add_co_u32_e32 v2, vcc, s12, v2
	v_addc_co_u32_e32 v3, vcc, v3, v1, vcc
	v_or_b32_e32 v58, 0x3800, v34
	v_or_b32_e32 v57, 0x4000, v34
	s_load_dwordx4 s[0:3], s[2:3], 0x0
	global_load_dword v50, v52, s[8:9]
	global_load_dword v46, v53, s[8:9]
	;; [unrolled: 1-line block ×6, first 2 shown]
	global_load_dword v7, v[2:3], off
	v_add_co_u32_e32 v2, vcc, s12, v2
	v_addc_co_u32_e32 v3, vcc, v3, v1, vcc
	global_load_dword v8, v[2:3], off
	v_add_co_u32_e32 v2, vcc, s12, v2
	v_addc_co_u32_e32 v3, vcc, v3, v1, vcc
	;; [unrolled: 3-line block ×6, first 2 shown]
	v_or_b32_e32 v63, 0x4800, v34
	global_load_dword v49, v63, s[8:9]
	v_or_b32_e32 v66, 0x5000, v34
	global_load_dword v47, v66, s[8:9]
	;; [unrolled: 2-line block ×5, first 2 shown]
	v_or_b32_e32 v62, 0x7000, v34
	v_or_b32_e32 v64, 0x7800, v34
	global_load_dword v43, v64, s[8:9]
	global_load_dword v42, v62, s[8:9]
	s_mov_b32 s8, 0xb9a8
	s_movk_i32 s9, 0x39a8
	s_mov_b32 s13, 0xbb64
	s_movk_i32 s14, 0x3b64
	s_movk_i32 s15, 0x361f
	s_load_dwordx2 s[4:5], s[4:5], 0x38
	s_waitcnt vmcnt(24)
	v_lshrrev_b32_e32 v13, 16, v5
	s_waitcnt vmcnt(23)
	v_mul_f16_sdwa v14, v40, v5 dst_sel:DWORD dst_unused:UNUSED_PAD src0_sel:WORD_1 src1_sel:DWORD
	v_mul_f16_sdwa v15, v40, v13 dst_sel:DWORD dst_unused:UNUSED_PAD src0_sel:WORD_1 src1_sel:DWORD
	v_fma_f16 v13, v40, v13, -v14
	s_waitcnt vmcnt(22)
	v_lshrrev_b32_e32 v14, 16, v4
	s_waitcnt vmcnt(21)
	v_mul_f16_sdwa v16, v37, v4 dst_sel:DWORD dst_unused:UNUSED_PAD src0_sel:WORD_1 src1_sel:DWORD
	v_fma_f16 v5, v40, v5, v15
	v_mul_f16_sdwa v15, v37, v14 dst_sel:DWORD dst_unused:UNUSED_PAD src0_sel:WORD_1 src1_sel:DWORD
	v_fma_f16 v14, v37, v14, -v16
	v_fma_f16 v4, v37, v4, v15
	v_pack_b32_f16 v5, v5, v13
	v_pack_b32_f16 v4, v4, v14
	ds_write2st64_b32 v34, v5, v4 offset1:8
	global_load_dword v5, v[2:3], off
	s_waitcnt vmcnt(21)
	v_lshrrev_b32_e32 v16, 16, v6
	s_waitcnt vmcnt(20)
	v_mul_f16_sdwa v17, v36, v6 dst_sel:DWORD dst_unused:UNUSED_PAD src0_sel:WORD_1 src1_sel:DWORD
	v_mul_f16_sdwa v13, v36, v16 dst_sel:DWORD dst_unused:UNUSED_PAD src0_sel:WORD_1 src1_sel:DWORD
	v_add_co_u32_e32 v2, vcc, s12, v2
	v_fma_f16 v15, v36, v16, -v17
	v_fma_f16 v6, v36, v6, v13
	v_addc_co_u32_e32 v3, vcc, v3, v1, vcc
	v_pack_b32_f16 v4, v6, v15
	global_load_dword v6, v[2:3], off
	v_add_co_u32_e32 v2, vcc, s12, v2
	v_addc_co_u32_e32 v3, vcc, v3, v1, vcc
	global_load_dword v13, v[2:3], off
	v_add_co_u32_e32 v2, vcc, s12, v2
	v_addc_co_u32_e32 v3, vcc, v3, v1, vcc
	global_load_dword v14, v[2:3], off
	v_add_co_u32_e32 v2, vcc, s12, v2
	v_addc_co_u32_e32 v3, vcc, v3, v1, vcc
	global_load_dword v15, v[2:3], off
	v_add_co_u32_e32 v2, vcc, s12, v2
	v_addc_co_u32_e32 v3, vcc, v3, v1, vcc
	global_load_dword v16, v[2:3], off
	v_add_co_u32_e32 v2, vcc, s12, v2
	v_addc_co_u32_e32 v3, vcc, v3, v1, vcc
	global_load_dword v1, v[2:3], off
	s_waitcnt vmcnt(19)
	v_lshrrev_b32_e32 v2, 16, v7
	v_mul_f16_sdwa v3, v50, v2 dst_sel:DWORD dst_unused:UNUSED_PAD src0_sel:WORD_1 src1_sel:DWORD
	v_fma_f16 v3, v50, v7, v3
	v_mul_f16_sdwa v7, v50, v7 dst_sel:DWORD dst_unused:UNUSED_PAD src0_sel:WORD_1 src1_sel:DWORD
	v_fma_f16 v2, v50, v2, -v7
	v_pack_b32_f16 v2, v3, v2
	ds_write2st64_b32 v34, v4, v2 offset0:16 offset1:24
	s_waitcnt vmcnt(18)
	v_lshrrev_b32_e32 v2, 16, v8
	v_mul_f16_sdwa v3, v46, v2 dst_sel:DWORD dst_unused:UNUSED_PAD src0_sel:WORD_1 src1_sel:DWORD
	v_mul_f16_sdwa v4, v46, v8 dst_sel:DWORD dst_unused:UNUSED_PAD src0_sel:WORD_1 src1_sel:DWORD
	v_fma_f16 v3, v46, v8, v3
	v_fma_f16 v2, v46, v2, -v4
	v_pack_b32_f16 v2, v3, v2
	s_waitcnt vmcnt(17)
	v_lshrrev_b32_e32 v3, 16, v9
	v_mul_f16_sdwa v4, v41, v3 dst_sel:DWORD dst_unused:UNUSED_PAD src0_sel:WORD_1 src1_sel:DWORD
	v_mul_f16_sdwa v7, v41, v9 dst_sel:DWORD dst_unused:UNUSED_PAD src0_sel:WORD_1 src1_sel:DWORD
	v_fma_f16 v4, v41, v9, v4
	v_fma_f16 v3, v41, v3, -v7
	v_pack_b32_f16 v3, v4, v3
	ds_write2st64_b32 v34, v2, v3 offset0:32 offset1:40
	s_waitcnt vmcnt(16)
	v_lshrrev_b32_e32 v2, 16, v10
	v_mul_f16_sdwa v3, v39, v2 dst_sel:DWORD dst_unused:UNUSED_PAD src0_sel:WORD_1 src1_sel:DWORD
	v_mul_f16_sdwa v4, v39, v10 dst_sel:DWORD dst_unused:UNUSED_PAD src0_sel:WORD_1 src1_sel:DWORD
	v_fma_f16 v3, v39, v10, v3
	v_fma_f16 v2, v39, v2, -v4
	v_pack_b32_f16 v2, v3, v2
	s_waitcnt vmcnt(15)
	v_lshrrev_b32_e32 v3, 16, v11
	v_mul_f16_sdwa v4, v38, v3 dst_sel:DWORD dst_unused:UNUSED_PAD src0_sel:WORD_1 src1_sel:DWORD
	v_mul_f16_sdwa v7, v38, v11 dst_sel:DWORD dst_unused:UNUSED_PAD src0_sel:WORD_1 src1_sel:DWORD
	v_fma_f16 v4, v38, v11, v4
	v_fma_f16 v3, v38, v3, -v7
	v_pack_b32_f16 v3, v4, v3
	ds_write2st64_b32 v34, v2, v3 offset0:48 offset1:56
	s_waitcnt vmcnt(14)
	v_lshrrev_b32_e32 v2, 16, v12
	v_mul_f16_sdwa v3, v35, v2 dst_sel:DWORD dst_unused:UNUSED_PAD src0_sel:WORD_1 src1_sel:DWORD
	v_mul_f16_sdwa v4, v35, v12 dst_sel:DWORD dst_unused:UNUSED_PAD src0_sel:WORD_1 src1_sel:DWORD
	v_fma_f16 v3, v35, v12, v3
	v_fma_f16 v2, v35, v2, -v4
	v_pack_b32_f16 v2, v3, v2
	s_mov_b32 s12, 0xb61f
	s_waitcnt vmcnt(6)
	v_lshrrev_b32_e32 v3, 16, v5
	v_mul_f16_sdwa v4, v49, v3 dst_sel:DWORD dst_unused:UNUSED_PAD src0_sel:WORD_1 src1_sel:DWORD
	v_fma_f16 v4, v49, v5, v4
	v_mul_f16_sdwa v5, v49, v5 dst_sel:DWORD dst_unused:UNUSED_PAD src0_sel:WORD_1 src1_sel:DWORD
	v_fma_f16 v3, v49, v3, -v5
	v_pack_b32_f16 v3, v4, v3
	ds_write2st64_b32 v34, v2, v3 offset0:64 offset1:72
	s_waitcnt vmcnt(5)
	v_lshrrev_b32_e32 v2, 16, v6
	v_mul_f16_sdwa v3, v47, v2 dst_sel:DWORD dst_unused:UNUSED_PAD src0_sel:WORD_1 src1_sel:DWORD
	v_mul_f16_sdwa v4, v47, v6 dst_sel:DWORD dst_unused:UNUSED_PAD src0_sel:WORD_1 src1_sel:DWORD
	v_fma_f16 v3, v47, v6, v3
	v_fma_f16 v2, v47, v2, -v4
	v_pack_b32_f16 v2, v3, v2
	s_waitcnt vmcnt(4)
	v_lshrrev_b32_e32 v3, 16, v13
	v_mul_f16_sdwa v4, v48, v3 dst_sel:DWORD dst_unused:UNUSED_PAD src0_sel:WORD_1 src1_sel:DWORD
	v_mul_f16_sdwa v5, v48, v13 dst_sel:DWORD dst_unused:UNUSED_PAD src0_sel:WORD_1 src1_sel:DWORD
	v_fma_f16 v4, v48, v13, v4
	v_fma_f16 v3, v48, v3, -v5
	v_pack_b32_f16 v3, v4, v3
	ds_write2st64_b32 v34, v2, v3 offset0:80 offset1:88
	s_waitcnt vmcnt(3)
	v_lshrrev_b32_e32 v2, 16, v14
	v_mul_f16_sdwa v3, v44, v2 dst_sel:DWORD dst_unused:UNUSED_PAD src0_sel:WORD_1 src1_sel:DWORD
	v_mul_f16_sdwa v4, v44, v14 dst_sel:DWORD dst_unused:UNUSED_PAD src0_sel:WORD_1 src1_sel:DWORD
	v_fma_f16 v3, v44, v14, v3
	v_fma_f16 v2, v44, v2, -v4
	v_pack_b32_f16 v2, v3, v2
	s_waitcnt vmcnt(2)
	v_lshrrev_b32_e32 v3, 16, v15
	v_mul_f16_sdwa v4, v45, v3 dst_sel:DWORD dst_unused:UNUSED_PAD src0_sel:WORD_1 src1_sel:DWORD
	v_mul_f16_sdwa v5, v45, v15 dst_sel:DWORD dst_unused:UNUSED_PAD src0_sel:WORD_1 src1_sel:DWORD
	v_fma_f16 v4, v45, v15, v4
	v_fma_f16 v3, v45, v3, -v5
	v_pack_b32_f16 v3, v4, v3
	ds_write2st64_b32 v34, v2, v3 offset0:96 offset1:104
	s_waitcnt vmcnt(1)
	v_lshrrev_b32_e32 v2, 16, v16
	v_mul_f16_sdwa v3, v42, v2 dst_sel:DWORD dst_unused:UNUSED_PAD src0_sel:WORD_1 src1_sel:DWORD
	v_mul_f16_sdwa v4, v42, v16 dst_sel:DWORD dst_unused:UNUSED_PAD src0_sel:WORD_1 src1_sel:DWORD
	v_fma_f16 v3, v42, v16, v3
	v_fma_f16 v2, v42, v2, -v4
	v_pack_b32_f16 v2, v3, v2
	s_waitcnt vmcnt(0)
	v_lshrrev_b32_e32 v3, 16, v1
	v_mul_f16_sdwa v4, v43, v3 dst_sel:DWORD dst_unused:UNUSED_PAD src0_sel:WORD_1 src1_sel:DWORD
	v_fma_f16 v4, v43, v1, v4
	v_mul_f16_sdwa v1, v43, v1 dst_sel:DWORD dst_unused:UNUSED_PAD src0_sel:WORD_1 src1_sel:DWORD
	v_fma_f16 v1, v43, v3, -v1
	v_pack_b32_f16 v1, v4, v1
	ds_write2st64_b32 v34, v2, v1 offset0:112 offset1:120
	s_waitcnt lgkmcnt(0)
	s_barrier
	ds_read2st64_b32 v[1:2], v34 offset1:8
	ds_read2st64_b32 v[3:4], v34 offset0:16 offset1:24
	ds_read2st64_b32 v[5:6], v34 offset0:32 offset1:40
	;; [unrolled: 1-line block ×7, first 2 shown]
	s_waitcnt lgkmcnt(4)
	v_pk_add_f16 v8, v2, v8 neg_lo:[0,1] neg_hi:[0,1]
	v_pk_add_f16 v7, v1, v7 neg_lo:[0,1] neg_hi:[0,1]
	s_waitcnt lgkmcnt(2)
	v_pk_add_f16 v11, v5, v11 neg_lo:[0,1] neg_hi:[0,1]
	s_waitcnt lgkmcnt(1)
	v_pk_add_f16 v13, v3, v13 neg_lo:[0,1] neg_hi:[0,1]
	v_pk_fma_f16 v17, v3, 2.0, v13 op_sel_hi:[1,0,1] neg_lo:[0,0,1] neg_hi:[0,0,1]
	s_waitcnt lgkmcnt(0)
	v_pk_add_f16 v3, v9, v15 neg_lo:[0,1] neg_hi:[0,1]
	v_pk_fma_f16 v15, v2, 2.0, v8 op_sel_hi:[1,0,1] neg_lo:[0,0,1] neg_hi:[0,0,1]
	v_pk_add_f16 v2, v6, v12 neg_lo:[0,1] neg_hi:[0,1]
	v_pk_add_f16 v12, v4, v14 neg_lo:[0,1] neg_hi:[0,1]
	v_pk_fma_f16 v14, v4, 2.0, v12 op_sel_hi:[1,0,1] neg_lo:[0,0,1] neg_hi:[0,0,1]
	v_pk_add_f16 v4, v10, v16 neg_lo:[0,1] neg_hi:[0,1]
	v_pk_fma_f16 v1, v1, 2.0, v7 op_sel_hi:[1,0,1] neg_lo:[0,0,1] neg_hi:[0,0,1]
	v_pk_fma_f16 v5, v5, 2.0, v11 op_sel_hi:[1,0,1] neg_lo:[0,0,1] neg_hi:[0,0,1]
	;; [unrolled: 1-line block ×5, first 2 shown]
	v_pk_add_f16 v5, v1, v5 neg_lo:[0,1] neg_hi:[0,1]
	v_pk_add_f16 v9, v17, v9 neg_lo:[0,1] neg_hi:[0,1]
	;; [unrolled: 1-line block ×4, first 2 shown]
	v_sub_f16_sdwa v18, v5, v9 dst_sel:DWORD dst_unused:UNUSED_PAD src0_sel:DWORD src1_sel:WORD_1
	v_lshrrev_b32_e32 v19, 16, v5
	v_sub_f16_sdwa v22, v6, v10 dst_sel:DWORD dst_unused:UNUSED_PAD src0_sel:DWORD src1_sel:WORD_1
	v_lshrrev_b32_e32 v23, 16, v6
	v_add_f16_e32 v20, v19, v9
	v_fma_f16 v21, v5, 2.0, -v18
	v_add_f16_e32 v24, v23, v10
	v_fma_f16 v25, v6, 2.0, -v22
	v_fma_f16 v19, v19, 2.0, -v20
	;; [unrolled: 1-line block ×3, first 2 shown]
	v_fma_f16 v26, v25, s8, v21
	v_fma_f16 v26, v23, s8, v26
	;; [unrolled: 1-line block ×3, first 2 shown]
	v_sub_f16_sdwa v16, v7, v11 dst_sel:DWORD dst_unused:UNUSED_PAD src0_sel:DWORD src1_sel:WORD_1
	v_fma_f16 v23, v25, s9, v23
	v_lshrrev_b32_e32 v25, 16, v7
	v_sub_f16_sdwa v27, v13, v3 dst_sel:DWORD dst_unused:UNUSED_PAD src0_sel:DWORD src1_sel:WORD_1
	v_lshrrev_b32_e32 v28, 16, v13
	v_add_f16_e32 v11, v25, v11
	v_add_f16_e32 v29, v28, v3
	v_fma_f16 v3, v27, s9, v16
	v_sub_f16_sdwa v30, v8, v2 dst_sel:DWORD dst_unused:UNUSED_PAD src0_sel:DWORD src1_sel:WORD_1
	v_lshrrev_b32_e32 v31, 16, v8
	v_sub_f16_sdwa v32, v12, v4 dst_sel:DWORD dst_unused:UNUSED_PAD src0_sel:DWORD src1_sel:WORD_1
	v_lshrrev_b32_e32 v56, 16, v12
	v_fma_f16 v60, v29, s8, v3
	v_fma_f16 v3, v29, s9, v11
	v_add_f16_e32 v2, v31, v2
	v_add_f16_e32 v59, v56, v4
	v_fma_f16 v61, v27, s9, v3
	v_fma_f16 v3, v32, s9, v30
	;; [unrolled: 1-line block ×5, first 2 shown]
	v_fma_f16 v3, v16, 2.0, -v60
	v_fma_f16 v4, v30, 2.0, -v65
	;; [unrolled: 1-line block ×3, first 2 shown]
	v_fma_f16 v72, v4, s12, v3
	v_fma_f16 v73, v11, 2.0, -v61
	v_fma_f16 v72, v71, s13, v72
	v_fma_f16 v71, v71, s12, v73
	;; [unrolled: 1-line block ×3, first 2 shown]
	v_fma_f16 v21, v21, 2.0, -v26
	v_fma_f16 v19, v19, 2.0, -v23
	v_fma_f16 v3, v3, 2.0, -v72
	v_fma_f16 v4, v73, 2.0, -v71
	v_fma_f16 v7, v7, 2.0, -v16
	v_fma_f16 v13, v13, 2.0, -v27
	v_pack_b32_f16 v4, v3, v4
	v_pack_b32_f16 v3, v21, v19
	v_fma_f16 v11, v25, 2.0, -v11
	v_fma_f16 v16, v28, 2.0, -v29
	v_fma_f16 v21, v13, s8, v7
	v_fma_f16 v8, v8, 2.0, -v30
	v_fma_f16 v12, v12, 2.0, -v32
	v_fma_f16 v21, v16, s8, v21
	v_fma_f16 v16, v16, s8, v11
	v_fma_f16 v2, v31, 2.0, -v2
	v_fma_f16 v19, v56, 2.0, -v59
	v_fma_f16 v13, v13, s9, v16
	v_fma_f16 v16, v12, s8, v8
	;; [unrolled: 1-line block ×5, first 2 shown]
	v_fma_f16 v7, v7, 2.0, -v21
	v_fma_f16 v8, v8, 2.0, -v16
	;; [unrolled: 1-line block ×4, first 2 shown]
	v_fma_f16 v19, v8, s13, v7
	v_fma_f16 v19, v2, s12, v19
	;; [unrolled: 1-line block ×4, first 2 shown]
	v_fma_f16 v2, v7, 2.0, -v19
	v_fma_f16 v7, v11, 2.0, -v25
	v_pack_b32_f16 v2, v2, v7
	v_pk_fma_f16 v1, v1, 2.0, v5 op_sel_hi:[1,0,1] neg_lo:[0,0,1] neg_hi:[0,0,1]
	v_pk_fma_f16 v5, v17, 2.0, v9 op_sel_hi:[1,0,1] neg_lo:[0,0,1] neg_hi:[0,0,1]
	;; [unrolled: 1-line block ×4, first 2 shown]
	v_pk_add_f16 v8, v1, v5 neg_lo:[0,1] neg_hi:[0,1]
	v_pk_add_f16 v7, v6, v7 neg_lo:[0,1] neg_hi:[0,1]
	v_pk_fma_f16 v1, v1, 2.0, v8 op_sel_hi:[1,0,1] neg_lo:[0,0,1] neg_hi:[0,0,1]
	v_pk_fma_f16 v5, v6, 2.0, v7 op_sel_hi:[1,0,1] neg_lo:[0,0,1] neg_hi:[0,0,1]
	v_pk_add_f16 v5, v1, v5 neg_lo:[0,1] neg_hi:[0,1]
	v_pk_fma_f16 v1, v1, 2.0, v5 op_sel_hi:[1,0,1] neg_lo:[0,0,1] neg_hi:[0,0,1]
	v_lshlrev_b32_e32 v56, 6, v0
	s_barrier
	ds_write_b128 v56, v[1:4]
	v_fma_f16 v1, v22, s9, v18
	v_fma_f16 v3, v65, s14, v60
	;; [unrolled: 1-line block ×8, first 2 shown]
	v_fma_f16 v1, v18, 2.0, -v9
	v_fma_f16 v2, v20, 2.0, -v10
	;; [unrolled: 1-line block ×4, first 2 shown]
	v_pack_b32_f16 v4, v3, v4
	v_pack_b32_f16 v3, v1, v2
	v_lshrrev_b32_e32 v1, 16, v8
	v_sub_f16_sdwa v15, v8, v7 dst_sel:DWORD dst_unused:UNUSED_PAD src0_sel:DWORD src1_sel:WORD_1
	v_add_f16_e32 v17, v1, v7
	v_fma_f16 v2, v8, 2.0, -v15
	v_fma_f16 v1, v1, 2.0, -v17
	v_pack_b32_f16 v1, v2, v1
	v_fma_f16 v2, v16, s15, v21
	v_fma_f16 v18, v12, s13, v2
	;; [unrolled: 1-line block ×4, first 2 shown]
	v_fma_f16 v2, v21, 2.0, -v18
	v_fma_f16 v6, v13, 2.0, -v12
	v_pack_b32_f16 v2, v2, v6
	ds_write_b128 v56, v[1:4] offset:16
	v_pack_b32_f16 v4, v11, v14
	v_pack_b32_f16 v3, v9, v10
	;; [unrolled: 1-line block ×4, first 2 shown]
	ds_write_b128 v56, v[1:4] offset:48
	v_and_b32_e32 v1, 15, v0
	v_mad_u64_u32 v[2:3], s[16:17], v1, 12, s[10:11]
	v_pack_b32_f16 v8, v72, v71
	v_pack_b32_f16 v7, v26, v23
	;; [unrolled: 1-line block ×3, first 2 shown]
	ds_write_b128 v56, v[5:8] offset:32
	s_waitcnt lgkmcnt(0)
	s_barrier
	global_load_dwordx3 v[21:23], v[2:3], off
	ds_read2st64_b32 v[2:3], v34 offset1:8
	ds_read2st64_b32 v[4:5], v34 offset0:32 offset1:40
	ds_read2st64_b32 v[6:7], v34 offset0:64 offset1:72
	;; [unrolled: 1-line block ×3, first 2 shown]
	s_movk_i32 s16, 0x7c0
	s_waitcnt lgkmcnt(3)
	v_lshrrev_b32_e32 v14, 16, v2
	s_waitcnt lgkmcnt(2)
	v_lshrrev_b32_e32 v15, 16, v4
	;; [unrolled: 2-line block ×4, first 2 shown]
	v_and_or_b32 v20, v34, s16, v1
	v_lshlrev_b32_e32 v59, 2, v20
	ds_read2st64_b32 v[10:11], v34 offset0:16 offset1:24
	ds_read2st64_b32 v[12:13], v34 offset0:48 offset1:56
	s_movk_i32 s16, 0xfc0
	s_waitcnt lgkmcnt(0)
	v_lshrrev_b32_e32 v24, 16, v13
	s_waitcnt vmcnt(0)
	v_mul_f16_sdwa v18, v15, v21 dst_sel:DWORD dst_unused:UNUSED_PAD src0_sel:DWORD src1_sel:WORD_1
	v_fma_f16 v18, v4, v21, -v18
	v_mul_f16_sdwa v4, v4, v21 dst_sel:DWORD dst_unused:UNUSED_PAD src0_sel:DWORD src1_sel:WORD_1
	v_fma_f16 v4, v15, v21, v4
	v_mul_f16_sdwa v15, v16, v22 dst_sel:DWORD dst_unused:UNUSED_PAD src0_sel:DWORD src1_sel:WORD_1
	v_fma_f16 v15, v6, v22, -v15
	v_mul_f16_sdwa v6, v6, v22 dst_sel:DWORD dst_unused:UNUSED_PAD src0_sel:DWORD src1_sel:WORD_1
	v_fma_f16 v6, v16, v22, v6
	;; [unrolled: 4-line block ×3, first 2 shown]
	v_sub_f16_e32 v17, v2, v15
	v_sub_f16_e32 v6, v14, v6
	;; [unrolled: 1-line block ×4, first 2 shown]
	v_fma_f16 v2, v2, 2.0, -v17
	v_fma_f16 v14, v14, 2.0, -v6
	;; [unrolled: 1-line block ×4, first 2 shown]
	v_sub_f16_e32 v18, v2, v15
	v_sub_f16_e32 v4, v14, v4
	;; [unrolled: 1-line block ×3, first 2 shown]
	v_add_f16_e32 v19, v6, v16
	v_fma_f16 v2, v2, 2.0, -v18
	v_fma_f16 v14, v14, 2.0, -v4
	;; [unrolled: 1-line block ×4, first 2 shown]
	v_pack_b32_f16 v2, v2, v14
	v_pack_b32_f16 v6, v16, v6
	ds_read2st64_b32 v[14:15], v34 offset0:80 offset1:88
	ds_read2st64_b32 v[16:17], v34 offset0:112 offset1:120
	s_waitcnt lgkmcnt(0)
	s_barrier
	ds_write2_b32 v59, v2, v6 offset1:16
	v_pack_b32_f16 v2, v18, v4
	v_pack_b32_f16 v6, v8, v19
	v_lshrrev_b32_e32 v8, 16, v5
	ds_write2_b32 v59, v2, v6 offset0:32 offset1:48
	v_mul_f16_sdwa v6, v8, v21 dst_sel:DWORD dst_unused:UNUSED_PAD src0_sel:DWORD src1_sel:WORD_1
	v_lshrrev_b32_e32 v2, 16, v7
	v_fma_f16 v6, v5, v21, -v6
	v_mul_f16_sdwa v5, v5, v21 dst_sel:DWORD dst_unused:UNUSED_PAD src0_sel:DWORD src1_sel:WORD_1
	v_fma_f16 v5, v8, v21, v5
	v_mul_f16_sdwa v8, v2, v22 dst_sel:DWORD dst_unused:UNUSED_PAD src0_sel:DWORD src1_sel:WORD_1
	v_lshrrev_b32_e32 v18, 16, v9
	v_fma_f16 v8, v7, v22, -v8
	v_mul_f16_sdwa v7, v7, v22 dst_sel:DWORD dst_unused:UNUSED_PAD src0_sel:DWORD src1_sel:WORD_1
	v_fma_f16 v2, v2, v22, v7
	v_mul_f16_sdwa v7, v18, v23 dst_sel:DWORD dst_unused:UNUSED_PAD src0_sel:DWORD src1_sel:WORD_1
	v_fma_f16 v7, v9, v23, -v7
	v_mul_f16_sdwa v9, v9, v23 dst_sel:DWORD dst_unused:UNUSED_PAD src0_sel:DWORD src1_sel:WORD_1
	v_lshrrev_b32_e32 v4, 16, v3
	v_fma_f16 v9, v18, v23, v9
	v_sub_f16_e32 v8, v3, v8
	v_sub_f16_e32 v2, v4, v2
	;; [unrolled: 1-line block ×4, first 2 shown]
	v_fma_f16 v6, v6, 2.0, -v7
	v_fma_f16 v5, v5, 2.0, -v9
	v_sub_f16_e32 v9, v8, v9
	v_add_f16_e32 v7, v2, v7
	v_fma_f16 v3, v3, 2.0, -v8
	v_fma_f16 v4, v4, 2.0, -v2
	;; [unrolled: 1-line block ×4, first 2 shown]
	v_sub_f16_e32 v6, v3, v6
	v_sub_f16_e32 v5, v4, v5
	v_pack_b32_f16 v2, v8, v2
	v_or_b32_e32 v8, 0x800, v34
	v_fma_f16 v3, v3, 2.0, -v6
	v_fma_f16 v4, v4, 2.0, -v5
	v_and_or_b32 v8, v8, s16, v1
	v_pack_b32_f16 v3, v3, v4
	v_lshlrev_b32_e32 v60, 2, v8
	v_lshrrev_b32_e32 v19, 16, v12
	v_lshrrev_b32_e32 v20, 16, v14
	ds_write2_b32 v60, v3, v2 offset1:16
	v_mul_f16_sdwa v3, v12, v21 dst_sel:DWORD dst_unused:UNUSED_PAD src0_sel:DWORD src1_sel:WORD_1
	v_lshrrev_b32_e32 v4, 16, v15
	v_mul_f16_sdwa v2, v19, v21 dst_sel:DWORD dst_unused:UNUSED_PAD src0_sel:DWORD src1_sel:WORD_1
	v_fma_f16 v3, v19, v21, v3
	v_mul_f16_sdwa v8, v24, v21 dst_sel:DWORD dst_unused:UNUSED_PAD src0_sel:DWORD src1_sel:WORD_1
	v_mul_f16_sdwa v19, v20, v22 dst_sel:DWORD dst_unused:UNUSED_PAD src0_sel:DWORD src1_sel:WORD_1
	v_fma_f16 v2, v12, v21, -v2
	v_fma_f16 v8, v13, v21, -v8
	v_mul_f16_sdwa v12, v13, v21 dst_sel:DWORD dst_unused:UNUSED_PAD src0_sel:DWORD src1_sel:WORD_1
	v_mul_f16_sdwa v13, v14, v22 dst_sel:DWORD dst_unused:UNUSED_PAD src0_sel:DWORD src1_sel:WORD_1
	v_fma_f16 v14, v14, v22, -v19
	v_mul_f16_sdwa v19, v4, v22 dst_sel:DWORD dst_unused:UNUSED_PAD src0_sel:DWORD src1_sel:WORD_1
	v_fma_f16 v19, v15, v22, -v19
	v_mul_f16_sdwa v15, v15, v22 dst_sel:DWORD dst_unused:UNUSED_PAD src0_sel:DWORD src1_sel:WORD_1
	v_lshrrev_b32_e32 v18, 16, v16
	v_fma_f16 v4, v4, v22, v15
	v_mul_f16_sdwa v15, v16, v23 dst_sel:DWORD dst_unused:UNUSED_PAD src0_sel:DWORD src1_sel:WORD_1
	v_fma_f16 v13, v20, v22, v13
	v_lshrrev_b32_e32 v20, 16, v17
	v_fma_f16 v15, v18, v23, v15
	v_mul_f16_sdwa v18, v18, v23 dst_sel:DWORD dst_unused:UNUSED_PAD src0_sel:DWORD src1_sel:WORD_1
	v_fma_f16 v16, v16, v23, -v18
	v_mul_f16_sdwa v18, v20, v23 dst_sel:DWORD dst_unused:UNUSED_PAD src0_sel:DWORD src1_sel:WORD_1
	v_fma_f16 v18, v17, v23, -v18
	v_mul_f16_sdwa v17, v17, v23 dst_sel:DWORD dst_unused:UNUSED_PAD src0_sel:DWORD src1_sel:WORD_1
	v_fma_f16 v17, v20, v23, v17
	v_lshrrev_b32_e32 v20, 16, v10
	v_sub_f16_e32 v14, v10, v14
	v_pack_b32_f16 v5, v6, v5
	v_sub_f16_e32 v6, v20, v13
	v_sub_f16_e32 v16, v2, v16
	;; [unrolled: 1-line block ×3, first 2 shown]
	v_fma_f16 v10, v10, 2.0, -v14
	v_fma_f16 v13, v20, 2.0, -v6
	;; [unrolled: 1-line block ×4, first 2 shown]
	v_fma_f16 v12, v24, v21, v12
	v_lshrrev_b32_e32 v24, 16, v11
	v_sub_f16_e32 v2, v10, v2
	v_sub_f16_e32 v3, v13, v3
	v_pack_b32_f16 v7, v9, v7
	s_movk_i32 s16, 0x17c0
	v_sub_f16_e32 v19, v11, v19
	v_fma_f16 v10, v10, 2.0, -v2
	v_fma_f16 v13, v13, 2.0, -v3
	v_sub_f16_e32 v15, v14, v15
	v_add_f16_e32 v16, v6, v16
	v_sub_f16_e32 v4, v24, v4
	v_sub_f16_e32 v18, v8, v18
	;; [unrolled: 1-line block ×3, first 2 shown]
	ds_write2_b32 v60, v5, v7 offset0:32 offset1:48
	v_and_or_b32 v5, v51, s16, v1
	v_fma_f16 v11, v11, 2.0, -v19
	v_fma_f16 v14, v14, 2.0, -v15
	;; [unrolled: 1-line block ×6, first 2 shown]
	v_lshlrev_b32_e32 v65, 2, v5
	v_pack_b32_f16 v5, v10, v13
	s_movk_i32 s16, 0x1fc0
	v_and_b32_e32 v13, 63, v0
	v_sub_f16_e32 v8, v11, v8
	v_sub_f16_e32 v12, v20, v12
	;; [unrolled: 1-line block ×3, first 2 shown]
	v_add_f16_e32 v18, v4, v18
	v_pack_b32_f16 v6, v14, v6
	v_pack_b32_f16 v2, v2, v3
	v_pack_b32_f16 v3, v15, v16
	v_and_or_b32 v1, v52, s16, v1
	v_mad_u64_u32 v[14:15], s[16:17], v13, 60, s[10:11]
	v_fma_f16 v11, v11, 2.0, -v8
	v_fma_f16 v20, v20, 2.0, -v12
	;; [unrolled: 1-line block ×4, first 2 shown]
	ds_write2_b32 v65, v2, v3 offset0:32 offset1:48
	v_lshlrev_b32_e32 v61, 2, v1
	v_pack_b32_f16 v1, v11, v20
	v_pack_b32_f16 v2, v19, v4
	ds_write2_b32 v61, v1, v2 offset1:16
	v_pack_b32_f16 v1, v8, v12
	v_pack_b32_f16 v2, v17, v18
	ds_write2_b32 v65, v5, v6 offset1:16
	ds_write2_b32 v61, v1, v2 offset0:32 offset1:48
	s_waitcnt lgkmcnt(0)
	s_barrier
	global_load_dwordx4 v[5:8], v[14:15], off offset:192
	global_load_dwordx4 v[1:4], v[14:15], off offset:208
	;; [unrolled: 1-line block ×3, first 2 shown]
	global_load_dwordx3 v[24:26], v[14:15], off offset:240
	ds_read2st64_b32 v[14:15], v34 offset0:16 offset1:24
	s_movk_i32 s16, 0x1c00
	s_waitcnt lgkmcnt(0)
	v_lshrrev_b32_e32 v16, 16, v14
	v_lshrrev_b32_e32 v18, 16, v15
	s_waitcnt vmcnt(3)
	v_mul_f16_sdwa v17, v16, v6 dst_sel:DWORD dst_unused:UNUSED_PAD src0_sel:DWORD src1_sel:WORD_1
	v_fma_f16 v19, v14, v6, -v17
	v_mul_f16_sdwa v14, v14, v6 dst_sel:DWORD dst_unused:UNUSED_PAD src0_sel:DWORD src1_sel:WORD_1
	v_fma_f16 v20, v16, v6, v14
	ds_read2st64_b32 v[16:17], v34 offset0:32 offset1:40
	v_mul_f16_sdwa v14, v18, v7 dst_sel:DWORD dst_unused:UNUSED_PAD src0_sel:DWORD src1_sel:WORD_1
	v_fma_f16 v27, v15, v7, -v14
	v_mul_f16_sdwa v14, v15, v7 dst_sel:DWORD dst_unused:UNUSED_PAD src0_sel:DWORD src1_sel:WORD_1
	v_fma_f16 v18, v18, v7, v14
	s_waitcnt lgkmcnt(0)
	v_lshrrev_b32_e32 v14, 16, v16
	v_mul_f16_sdwa v15, v16, v8 dst_sel:DWORD dst_unused:UNUSED_PAD src0_sel:DWORD src1_sel:WORD_1
	v_fma_f16 v28, v14, v8, v15
	v_mul_f16_sdwa v14, v14, v8 dst_sel:DWORD dst_unused:UNUSED_PAD src0_sel:DWORD src1_sel:WORD_1
	v_fma_f16 v29, v16, v8, -v14
	ds_read2st64_b32 v[14:15], v34 offset0:48 offset1:56
	v_lshrrev_b32_e32 v16, 16, v17
	s_waitcnt vmcnt(2)
	v_mul_f16_sdwa v30, v16, v1 dst_sel:DWORD dst_unused:UNUSED_PAD src0_sel:DWORD src1_sel:WORD_1
	v_fma_f16 v30, v17, v1, -v30
	v_mul_f16_sdwa v17, v17, v1 dst_sel:DWORD dst_unused:UNUSED_PAD src0_sel:DWORD src1_sel:WORD_1
	v_fma_f16 v31, v16, v1, v17
	s_waitcnt lgkmcnt(0)
	v_lshrrev_b32_e32 v16, 16, v14
	v_mul_f16_sdwa v17, v14, v2 dst_sel:DWORD dst_unused:UNUSED_PAD src0_sel:DWORD src1_sel:WORD_1
	v_fma_f16 v32, v16, v2, v17
	v_mul_f16_sdwa v16, v16, v2 dst_sel:DWORD dst_unused:UNUSED_PAD src0_sel:DWORD src1_sel:WORD_1
	v_fma_f16 v70, v14, v2, -v16
	ds_read2st64_b32 v[16:17], v34 offset0:64 offset1:72
	v_lshrrev_b32_e32 v14, 16, v15
	v_mul_f16_sdwa v71, v14, v3 dst_sel:DWORD dst_unused:UNUSED_PAD src0_sel:DWORD src1_sel:WORD_1
	v_fma_f16 v71, v15, v3, -v71
	v_mul_f16_sdwa v15, v15, v3 dst_sel:DWORD dst_unused:UNUSED_PAD src0_sel:DWORD src1_sel:WORD_1
	v_fma_f16 v72, v14, v3, v15
	s_waitcnt lgkmcnt(0)
	v_lshrrev_b32_e32 v14, 16, v16
	v_mul_f16_sdwa v15, v16, v4 dst_sel:DWORD dst_unused:UNUSED_PAD src0_sel:DWORD src1_sel:WORD_1
	v_fma_f16 v73, v14, v4, v15
	v_mul_f16_sdwa v14, v14, v4 dst_sel:DWORD dst_unused:UNUSED_PAD src0_sel:DWORD src1_sel:WORD_1
	v_fma_f16 v74, v16, v4, -v14
	ds_read2st64_b32 v[14:15], v34 offset0:80 offset1:88
	v_lshrrev_b32_e32 v16, 16, v17
	s_waitcnt vmcnt(1)
	v_mul_f16_sdwa v75, v16, v9 dst_sel:DWORD dst_unused:UNUSED_PAD src0_sel:DWORD src1_sel:WORD_1
	v_fma_f16 v75, v17, v9, -v75
	v_mul_f16_sdwa v17, v17, v9 dst_sel:DWORD dst_unused:UNUSED_PAD src0_sel:DWORD src1_sel:WORD_1
	v_fma_f16 v76, v16, v9, v17
	s_waitcnt lgkmcnt(0)
	v_lshrrev_b32_e32 v16, 16, v14
	v_mul_f16_sdwa v17, v14, v10 dst_sel:DWORD dst_unused:UNUSED_PAD src0_sel:DWORD src1_sel:WORD_1
	v_fma_f16 v77, v16, v10, v17
	v_mul_f16_sdwa v16, v16, v10 dst_sel:DWORD dst_unused:UNUSED_PAD src0_sel:DWORD src1_sel:WORD_1
	v_fma_f16 v78, v14, v10, -v16
	ds_read2st64_b32 v[16:17], v34 offset0:96 offset1:104
	v_lshrrev_b32_e32 v14, 16, v15
	v_mul_f16_sdwa v79, v14, v11 dst_sel:DWORD dst_unused:UNUSED_PAD src0_sel:DWORD src1_sel:WORD_1
	v_fma_f16 v79, v15, v11, -v79
	v_mul_f16_sdwa v15, v15, v11 dst_sel:DWORD dst_unused:UNUSED_PAD src0_sel:DWORD src1_sel:WORD_1
	v_fma_f16 v80, v14, v11, v15
	s_waitcnt lgkmcnt(0)
	v_lshrrev_b32_e32 v14, 16, v16
	v_mul_f16_sdwa v15, v16, v12 dst_sel:DWORD dst_unused:UNUSED_PAD src0_sel:DWORD src1_sel:WORD_1
	v_fma_f16 v81, v14, v12, v15
	v_mul_f16_sdwa v14, v14, v12 dst_sel:DWORD dst_unused:UNUSED_PAD src0_sel:DWORD src1_sel:WORD_1
	v_fma_f16 v82, v16, v12, -v14
	ds_read2st64_b32 v[14:15], v34 offset0:112 offset1:120
	v_lshrrev_b32_e32 v16, 16, v17
	s_waitcnt vmcnt(0)
	v_mul_f16_sdwa v83, v16, v24 dst_sel:DWORD dst_unused:UNUSED_PAD src0_sel:DWORD src1_sel:WORD_1
	v_fma_f16 v83, v17, v24, -v83
	v_mul_f16_sdwa v17, v17, v24 dst_sel:DWORD dst_unused:UNUSED_PAD src0_sel:DWORD src1_sel:WORD_1
	v_fma_f16 v84, v16, v24, v17
	s_waitcnt lgkmcnt(0)
	v_lshrrev_b32_e32 v16, 16, v14
	v_mul_f16_sdwa v17, v14, v25 dst_sel:DWORD dst_unused:UNUSED_PAD src0_sel:DWORD src1_sel:WORD_1
	v_fma_f16 v85, v16, v25, v17
	v_mul_f16_sdwa v16, v16, v25 dst_sel:DWORD dst_unused:UNUSED_PAD src0_sel:DWORD src1_sel:WORD_1
	v_fma_f16 v14, v14, v25, -v16
	ds_read2st64_b32 v[16:17], v34 offset1:8
	v_lshrrev_b32_e32 v86, 16, v15
	v_mul_f16_sdwa v87, v86, v26 dst_sel:DWORD dst_unused:UNUSED_PAD src0_sel:DWORD src1_sel:WORD_1
	v_fma_f16 v87, v15, v26, -v87
	v_mul_f16_sdwa v15, v15, v26 dst_sel:DWORD dst_unused:UNUSED_PAD src0_sel:DWORD src1_sel:WORD_1
	v_fma_f16 v15, v86, v26, v15
	s_waitcnt lgkmcnt(0)
	v_lshrrev_b32_e32 v86, 16, v17
	v_mul_f16_sdwa v88, v17, v5 dst_sel:DWORD dst_unused:UNUSED_PAD src0_sel:DWORD src1_sel:WORD_1
	v_fma_f16 v88, v86, v5, v88
	v_mul_f16_sdwa v86, v86, v5 dst_sel:DWORD dst_unused:UNUSED_PAD src0_sel:DWORD src1_sel:WORD_1
	v_fma_f16 v17, v17, v5, -v86
	v_sub_f16_e32 v74, v16, v74
	v_lshrrev_b32_e32 v86, 16, v16
	v_sub_f16_e32 v81, v28, v81
	v_sub_f16_e32 v78, v19, v78
	;; [unrolled: 1-line block ×5, first 2 shown]
	v_fma_f16 v28, v28, 2.0, -v81
	v_sub_f16_e32 v77, v20, v77
	v_sub_f16_e32 v14, v70, v14
	v_fma_f16 v32, v32, 2.0, -v85
	v_sub_f16_e32 v81, v74, v81
	v_sub_f16_e32 v85, v78, v85
	v_fma_f16 v16, v16, 2.0, -v74
	v_fma_f16 v29, v29, 2.0, -v82
	;; [unrolled: 1-line block ×4, first 2 shown]
	v_add_f16_e32 v82, v73, v82
	v_fma_f16 v74, v74, 2.0, -v81
	v_add_f16_e32 v14, v77, v14
	v_fma_f16 v78, v78, 2.0, -v85
	v_sub_f16_e32 v75, v17, v75
	v_sub_f16_e32 v84, v31, v84
	;; [unrolled: 1-line block ×4, first 2 shown]
	v_fma_f16 v86, v86, 2.0, -v73
	v_fma_f16 v20, v20, 2.0, -v77
	;; [unrolled: 1-line block ×4, first 2 shown]
	v_fma_f16 v89, v78, s8, v74
	v_sub_f16_e32 v76, v88, v76
	v_sub_f16_e32 v83, v30, v83
	v_fma_f16 v31, v31, 2.0, -v84
	v_sub_f16_e32 v80, v18, v80
	v_sub_f16_e32 v87, v71, v87
	v_fma_f16 v72, v72, 2.0, -v15
	v_sub_f16_e32 v84, v75, v84
	v_sub_f16_e32 v15, v79, v15
	v_fma_f16 v89, v77, s8, v89
	v_fma_f16 v77, v77, s8, v73
	v_fma_f16 v17, v17, 2.0, -v75
	v_fma_f16 v30, v30, 2.0, -v83
	v_fma_f16 v27, v27, 2.0, -v79
	v_fma_f16 v71, v71, 2.0, -v87
	v_add_f16_e32 v83, v76, v83
	v_fma_f16 v75, v75, 2.0, -v84
	v_add_f16_e32 v87, v80, v87
	v_fma_f16 v79, v79, 2.0, -v15
	v_fma_f16 v77, v78, s9, v77
	v_fma_f16 v78, v88, 2.0, -v76
	v_fma_f16 v18, v18, 2.0, -v80
	;; [unrolled: 1-line block ×4, first 2 shown]
	v_fma_f16 v88, v79, s8, v75
	v_fma_f16 v88, v80, s8, v88
	;; [unrolled: 1-line block ×4, first 2 shown]
	v_fma_f16 v74, v74, 2.0, -v89
	v_fma_f16 v75, v75, 2.0, -v88
	;; [unrolled: 1-line block ×4, first 2 shown]
	v_fma_f16 v80, v75, s13, v74
	v_fma_f16 v80, v76, s12, v80
	;; [unrolled: 1-line block ×4, first 2 shown]
	v_lshlrev_b32_e32 v76, 4, v0
	v_sub_f16_e32 v28, v86, v28
	v_and_or_b32 v13, v76, s16, v13
	v_sub_f16_e32 v29, v16, v29
	v_fma_f16 v76, v86, 2.0, -v28
	v_sub_f16_e32 v86, v19, v70
	v_sub_f16_e32 v32, v20, v32
	;; [unrolled: 1-line block ×6, first 2 shown]
	v_fma_f16 v16, v16, 2.0, -v29
	v_fma_f16 v19, v19, 2.0, -v86
	;; [unrolled: 1-line block ×7, first 2 shown]
	v_sub_f16_e32 v19, v16, v19
	v_sub_f16_e32 v20, v76, v20
	;; [unrolled: 1-line block ×4, first 2 shown]
	v_fma_f16 v16, v16, 2.0, -v19
	v_fma_f16 v76, v76, 2.0, -v20
	;; [unrolled: 1-line block ×4, first 2 shown]
	v_sub_f16_e32 v17, v16, v17
	v_sub_f16_e32 v78, v76, v70
	v_fma_f16 v16, v16, 2.0, -v17
	v_fma_f16 v70, v76, 2.0, -v78
	v_pack_b32_f16 v16, v16, v70
	v_fma_f16 v70, v74, 2.0, -v80
	v_fma_f16 v73, v73, 2.0, -v75
	v_pack_b32_f16 v73, v70, v73
	v_lshlrev_b32_e32 v70, 2, v13
	s_barrier
	ds_write2st64_b32 v70, v16, v73 offset1:1
	v_fma_f16 v73, v87, s9, v83
	v_sub_f16_e32 v32, v29, v32
	v_sub_f16_e32 v72, v30, v72
	v_fma_f16 v16, v15, s9, v84
	v_fma_f16 v15, v15, s9, v73
	v_add_f16_e32 v73, v28, v86
	v_fma_f16 v29, v29, 2.0, -v32
	v_add_f16_e32 v71, v31, v71
	v_fma_f16 v30, v30, 2.0, -v72
	v_fma_f16 v13, v85, s9, v81
	v_fma_f16 v28, v28, 2.0, -v73
	v_fma_f16 v31, v31, 2.0, -v71
	v_fma_f16 v74, v30, s8, v29
	v_fma_f16 v13, v14, s8, v13
	;; [unrolled: 1-line block ×8, first 2 shown]
	v_fma_f16 v31, v81, 2.0, -v13
	v_fma_f16 v81, v84, 2.0, -v16
	;; [unrolled: 1-line block ×4, first 2 shown]
	v_fma_f16 v83, v81, s12, v31
	v_fma_f16 v83, v82, s13, v83
	;; [unrolled: 1-line block ×4, first 2 shown]
	v_fma_f16 v29, v29, 2.0, -v74
	v_fma_f16 v28, v28, 2.0, -v30
	v_pack_b32_f16 v28, v29, v28
	v_fma_f16 v29, v31, 2.0, -v83
	v_fma_f16 v31, v76, 2.0, -v81
	v_pack_b32_f16 v29, v29, v31
	ds_write2st64_b32 v70, v28, v29 offset0:2 offset1:3
	v_fma_f16 v28, v88, s15, v89
	v_fma_f16 v29, v79, s15, v77
	v_sub_f16_e32 v18, v19, v18
	v_add_f16_e32 v27, v20, v27
	v_fma_f16 v28, v79, s13, v28
	v_fma_f16 v29, v88, s14, v29
	v_fma_f16 v19, v19, 2.0, -v18
	v_fma_f16 v20, v20, 2.0, -v27
	v_pack_b32_f16 v19, v19, v20
	v_fma_f16 v20, v89, 2.0, -v28
	v_fma_f16 v31, v77, 2.0, -v29
	v_pack_b32_f16 v20, v20, v31
	v_fma_f16 v31, v16, s14, v13
	ds_write2st64_b32 v70, v19, v20 offset0:4 offset1:5
	v_fma_f16 v19, v72, s9, v32
	v_fma_f16 v20, v71, s9, v73
	;; [unrolled: 1-line block ×7, first 2 shown]
	v_fma_f16 v16, v32, 2.0, -v19
	v_fma_f16 v32, v73, 2.0, -v20
	;; [unrolled: 1-line block ×4, first 2 shown]
	v_pack_b32_f16 v16, v16, v32
	v_pack_b32_f16 v13, v13, v14
	ds_write2st64_b32 v70, v16, v13 offset0:6 offset1:7
	v_pack_b32_f16 v13, v17, v78
	v_pack_b32_f16 v14, v80, v75
	ds_write2st64_b32 v70, v13, v14 offset0:8 offset1:9
	;; [unrolled: 3-line block ×3, first 2 shown]
	v_pack_b32_f16 v13, v18, v27
	v_pack_b32_f16 v14, v28, v29
	v_mad_u64_u32 v[27:28], s[10:11], v0, 28, s[10:11]
	ds_write2st64_b32 v70, v13, v14 offset0:12 offset1:13
	v_pack_b32_f16 v13, v19, v20
	v_pack_b32_f16 v14, v31, v15
	ds_write2st64_b32 v70, v13, v14 offset0:14 offset1:15
	s_waitcnt lgkmcnt(0)
	s_barrier
	global_load_dwordx4 v[17:20], v[27:28], off offset:4032
	s_movk_i32 s10, 0x3800
	v_add_co_u32_e32 v71, vcc, s10, v27
	v_addc_co_u32_e32 v72, vcc, 0, v28, vcc
	global_load_dwordx4 v[13:16], v[71:72], off offset:4032
	global_load_dwordx3 v[30:32], v[27:28], off offset:4048
	s_nop 0
	global_load_dwordx3 v[27:29], v[71:72], off offset:4048
	ds_read2st64_b32 v[71:72], v34 offset0:16 offset1:24
	s_waitcnt lgkmcnt(0)
	v_lshrrev_b32_e32 v73, 16, v71
	s_waitcnt vmcnt(3)
	v_mul_f16_sdwa v74, v71, v17 dst_sel:DWORD dst_unused:UNUSED_PAD src0_sel:DWORD src1_sel:WORD_1
	v_fma_f16 v75, v73, v17, v74
	v_mul_f16_sdwa v73, v73, v17 dst_sel:DWORD dst_unused:UNUSED_PAD src0_sel:DWORD src1_sel:WORD_1
	v_fma_f16 v76, v71, v17, -v73
	ds_read2st64_b32 v[73:74], v34 offset0:32 offset1:40
	v_lshrrev_b32_e32 v71, 16, v72
	s_waitcnt vmcnt(2)
	v_mul_f16_sdwa v77, v71, v13 dst_sel:DWORD dst_unused:UNUSED_PAD src0_sel:DWORD src1_sel:WORD_1
	v_fma_f16 v77, v72, v13, -v77
	v_mul_f16_sdwa v72, v72, v13 dst_sel:DWORD dst_unused:UNUSED_PAD src0_sel:DWORD src1_sel:WORD_1
	v_fma_f16 v78, v71, v13, v72
	s_waitcnt lgkmcnt(0)
	v_lshrrev_b32_e32 v71, 16, v73
	v_mul_f16_sdwa v72, v73, v18 dst_sel:DWORD dst_unused:UNUSED_PAD src0_sel:DWORD src1_sel:WORD_1
	v_fma_f16 v79, v71, v18, v72
	v_mul_f16_sdwa v71, v71, v18 dst_sel:DWORD dst_unused:UNUSED_PAD src0_sel:DWORD src1_sel:WORD_1
	v_fma_f16 v80, v73, v18, -v71
	ds_read2st64_b32 v[71:72], v34 offset0:48 offset1:56
	v_lshrrev_b32_e32 v73, 16, v74
	v_mul_f16_sdwa v81, v73, v14 dst_sel:DWORD dst_unused:UNUSED_PAD src0_sel:DWORD src1_sel:WORD_1
	v_fma_f16 v81, v74, v14, -v81
	v_mul_f16_sdwa v74, v74, v14 dst_sel:DWORD dst_unused:UNUSED_PAD src0_sel:DWORD src1_sel:WORD_1
	v_fma_f16 v82, v73, v14, v74
	s_waitcnt lgkmcnt(0)
	v_lshrrev_b32_e32 v73, 16, v71
	v_mul_f16_sdwa v74, v71, v19 dst_sel:DWORD dst_unused:UNUSED_PAD src0_sel:DWORD src1_sel:WORD_1
	v_fma_f16 v83, v73, v19, v74
	v_mul_f16_sdwa v73, v73, v19 dst_sel:DWORD dst_unused:UNUSED_PAD src0_sel:DWORD src1_sel:WORD_1
	v_fma_f16 v84, v71, v19, -v73
	ds_read2st64_b32 v[73:74], v34 offset0:64 offset1:72
	v_lshrrev_b32_e32 v71, 16, v72
	;; [unrolled: 12-line block ×3, first 2 shown]
	v_mul_f16_sdwa v89, v73, v16 dst_sel:DWORD dst_unused:UNUSED_PAD src0_sel:DWORD src1_sel:WORD_1
	v_fma_f16 v89, v74, v16, -v89
	v_mul_f16_sdwa v74, v74, v16 dst_sel:DWORD dst_unused:UNUSED_PAD src0_sel:DWORD src1_sel:WORD_1
	v_fma_f16 v90, v73, v16, v74
	s_waitcnt lgkmcnt(0)
	v_lshrrev_b32_e32 v73, 16, v71
	s_waitcnt vmcnt(1)
	v_mul_f16_sdwa v74, v71, v30 dst_sel:DWORD dst_unused:UNUSED_PAD src0_sel:DWORD src1_sel:WORD_1
	v_fma_f16 v91, v73, v30, v74
	v_mul_f16_sdwa v73, v73, v30 dst_sel:DWORD dst_unused:UNUSED_PAD src0_sel:DWORD src1_sel:WORD_1
	v_fma_f16 v92, v71, v30, -v73
	ds_read2st64_b32 v[73:74], v34 offset0:96 offset1:104
	v_lshrrev_b32_e32 v71, 16, v72
	s_waitcnt vmcnt(0)
	v_mul_f16_sdwa v93, v71, v27 dst_sel:DWORD dst_unused:UNUSED_PAD src0_sel:DWORD src1_sel:WORD_1
	v_fma_f16 v93, v72, v27, -v93
	v_mul_f16_sdwa v72, v72, v27 dst_sel:DWORD dst_unused:UNUSED_PAD src0_sel:DWORD src1_sel:WORD_1
	v_fma_f16 v94, v71, v27, v72
	s_waitcnt lgkmcnt(0)
	v_lshrrev_b32_e32 v71, 16, v73
	v_mul_f16_sdwa v72, v73, v31 dst_sel:DWORD dst_unused:UNUSED_PAD src0_sel:DWORD src1_sel:WORD_1
	v_fma_f16 v95, v71, v31, v72
	v_mul_f16_sdwa v71, v71, v31 dst_sel:DWORD dst_unused:UNUSED_PAD src0_sel:DWORD src1_sel:WORD_1
	v_fma_f16 v96, v73, v31, -v71
	ds_read2st64_b32 v[71:72], v34 offset0:112 offset1:120
	v_lshrrev_b32_e32 v73, 16, v74
	v_mul_f16_sdwa v97, v73, v28 dst_sel:DWORD dst_unused:UNUSED_PAD src0_sel:DWORD src1_sel:WORD_1
	v_fma_f16 v97, v74, v28, -v97
	v_mul_f16_sdwa v74, v74, v28 dst_sel:DWORD dst_unused:UNUSED_PAD src0_sel:DWORD src1_sel:WORD_1
	v_fma_f16 v98, v73, v28, v74
	s_waitcnt lgkmcnt(0)
	v_lshrrev_b32_e32 v73, 16, v71
	v_mul_f16_sdwa v74, v71, v32 dst_sel:DWORD dst_unused:UNUSED_PAD src0_sel:DWORD src1_sel:WORD_1
	v_fma_f16 v99, v73, v32, v74
	v_mul_f16_sdwa v73, v73, v32 dst_sel:DWORD dst_unused:UNUSED_PAD src0_sel:DWORD src1_sel:WORD_1
	v_fma_f16 v71, v71, v32, -v73
	ds_read2st64_b32 v[73:74], v34 offset1:8
	v_lshrrev_b32_e32 v100, 16, v72
	v_mul_f16_sdwa v101, v100, v29 dst_sel:DWORD dst_unused:UNUSED_PAD src0_sel:DWORD src1_sel:WORD_1
	v_fma_f16 v101, v72, v29, -v101
	v_mul_f16_sdwa v72, v72, v29 dst_sel:DWORD dst_unused:UNUSED_PAD src0_sel:DWORD src1_sel:WORD_1
	v_fma_f16 v72, v100, v29, v72
	s_waitcnt lgkmcnt(0)
	v_lshrrev_b32_e32 v100, 16, v73
	v_sub_f16_e32 v88, v73, v88
	v_sub_f16_e32 v87, v100, v87
	;; [unrolled: 1-line block ×8, first 2 shown]
	v_fma_f16 v73, v73, 2.0, -v88
	v_fma_f16 v100, v100, 2.0, -v87
	;; [unrolled: 1-line block ×8, first 2 shown]
	v_sub_f16_e32 v80, v73, v80
	v_sub_f16_e32 v79, v100, v79
	;; [unrolled: 1-line block ×4, first 2 shown]
	v_fma_f16 v73, v73, 2.0, -v80
	v_fma_f16 v100, v100, 2.0, -v79
	;; [unrolled: 1-line block ×4, first 2 shown]
	v_lshrrev_b32_e32 v102, 16, v74
	v_sub_f16_e32 v76, v73, v76
	v_sub_f16_e32 v75, v100, v75
	v_sub_f16_e32 v89, v74, v89
	v_fma_f16 v73, v73, 2.0, -v76
	v_fma_f16 v100, v100, 2.0, -v75
	v_sub_f16_e32 v90, v102, v90
	v_sub_f16_e32 v97, v81, v97
	;; [unrolled: 1-line block ×7, first 2 shown]
	v_fma_f16 v74, v74, 2.0, -v89
	v_pack_b32_f16 v73, v73, v100
	v_fma_f16 v100, v102, 2.0, -v90
	v_fma_f16 v81, v81, 2.0, -v97
	v_fma_f16 v82, v82, 2.0, -v98
	v_fma_f16 v77, v77, 2.0, -v93
	v_fma_f16 v78, v78, 2.0, -v94
	v_fma_f16 v85, v85, 2.0, -v101
	v_fma_f16 v86, v86, 2.0, -v72
	v_sub_f16_e32 v81, v74, v81
	v_sub_f16_e32 v82, v100, v82
	;; [unrolled: 1-line block ×4, first 2 shown]
	v_fma_f16 v74, v74, 2.0, -v81
	v_fma_f16 v100, v100, 2.0, -v82
	;; [unrolled: 1-line block ×4, first 2 shown]
	v_sub_f16_e32 v77, v74, v77
	v_sub_f16_e32 v78, v100, v78
	v_fma_f16 v74, v74, 2.0, -v77
	v_fma_f16 v100, v100, 2.0, -v78
	v_sub_f16_e32 v83, v80, v83
	v_add_f16_e32 v84, v79, v84
	v_pack_b32_f16 v74, v74, v100
	v_fma_f16 v80, v80, 2.0, -v83
	v_fma_f16 v79, v79, 2.0, -v84
	ds_write2st64_b32 v34, v73, v74 offset1:8
	v_sub_f16_e32 v73, v88, v95
	v_sub_f16_e32 v95, v92, v99
	v_pack_b32_f16 v79, v80, v79
	v_sub_f16_e32 v80, v81, v86
	v_add_f16_e32 v85, v82, v85
	v_add_f16_e32 v74, v87, v96
	v_fma_f16 v88, v88, 2.0, -v73
	v_add_f16_e32 v71, v91, v71
	v_fma_f16 v92, v92, 2.0, -v95
	v_fma_f16 v81, v81, 2.0, -v80
	;; [unrolled: 1-line block ×5, first 2 shown]
	v_fma_f16 v96, v92, s8, v88
	v_pack_b32_f16 v81, v81, v82
	v_fma_f16 v96, v91, s8, v96
	v_fma_f16 v91, v91, s8, v87
	ds_write2st64_b32 v34, v79, v81 offset0:32 offset1:40
	v_fma_f16 v79, v95, s9, v73
	v_fma_f16 v91, v92, s9, v91
	v_sub_f16_e32 v92, v89, v98
	v_add_f16_e32 v97, v90, v97
	v_sub_f16_e32 v72, v93, v72
	v_add_f16_e32 v98, v94, v101
	v_fma_f16 v79, v71, s8, v79
	v_fma_f16 v71, v71, s9, v74
	;; [unrolled: 1-line block ×5, first 2 shown]
	v_fma_f16 v89, v89, 2.0, -v92
	v_fma_f16 v93, v93, 2.0, -v72
	v_fma_f16 v81, v98, s8, v81
	v_fma_f16 v72, v72, s9, v82
	v_fma_f16 v73, v73, 2.0, -v79
	v_fma_f16 v74, v74, 2.0, -v71
	;; [unrolled: 1-line block ×4, first 2 shown]
	v_fma_f16 v99, v93, s8, v89
	v_pack_b32_f16 v73, v73, v74
	v_fma_f16 v74, v92, 2.0, -v81
	v_fma_f16 v82, v97, 2.0, -v72
	v_fma_f16 v99, v94, s8, v99
	v_fma_f16 v94, v94, s8, v90
	v_pack_b32_f16 v74, v74, v82
	v_fma_f16 v93, v93, s9, v94
	v_fma_f16 v88, v88, 2.0, -v96
	v_fma_f16 v87, v87, 2.0, -v91
	ds_write2st64_b32 v34, v73, v74 offset0:48 offset1:56
	v_pack_b32_f16 v73, v76, v75
	v_pack_b32_f16 v74, v77, v78
	;; [unrolled: 1-line block ×3, first 2 shown]
	v_fma_f16 v88, v89, 2.0, -v99
	v_fma_f16 v89, v90, 2.0, -v93
	ds_write2st64_b32 v34, v73, v74 offset0:64 offset1:72
	v_pack_b32_f16 v73, v96, v91
	v_pack_b32_f16 v74, v99, v93
	;; [unrolled: 1-line block ×3, first 2 shown]
	ds_write2st64_b32 v34, v73, v74 offset0:80 offset1:88
	v_pack_b32_f16 v73, v83, v84
	v_pack_b32_f16 v74, v80, v85
	;; [unrolled: 1-line block ×4, first 2 shown]
	ds_write2st64_b32 v34, v87, v88 offset0:16 offset1:24
	ds_write2st64_b32 v34, v73, v74 offset0:96 offset1:104
	;; [unrolled: 1-line block ×3, first 2 shown]
	s_waitcnt lgkmcnt(0)
	s_barrier
	global_load_dword v71, v34, s[6:7]
	global_load_dword v72, v34, s[6:7] offset:2048
	global_load_dword v73, v51, s[6:7]
	global_load_dword v74, v52, s[6:7]
	s_nop 0
	global_load_dword v53, v53, s[6:7]
	s_nop 0
	;; [unrolled: 2-line block ×6, first 2 shown]
	global_load_dword v63, v63, s[6:7]
	ds_read2st64_b32 v[51:52], v34 offset1:8
	global_load_dword v66, v66, s[6:7]
	s_waitcnt lgkmcnt(0)
	v_lshrrev_b32_e32 v75, 16, v51
	global_load_dword v67, v67, s[6:7]
	s_waitcnt vmcnt(11)
	v_mul_f16_sdwa v76, v51, v71 dst_sel:DWORD dst_unused:UNUSED_PAD src0_sel:DWORD src1_sel:WORD_1
	global_load_dword v68, v68, s[6:7]
	v_fma_f16 v76, v75, v71, v76
	global_load_dword v69, v69, s[6:7]
	v_mul_f16_sdwa v75, v75, v71 dst_sel:DWORD dst_unused:UNUSED_PAD src0_sel:DWORD src1_sel:WORD_1
	global_load_dword v62, v62, s[6:7]
	v_fma_f16 v71, v51, v71, -v75
	global_load_dword v64, v64, s[6:7]
	v_lshrrev_b32_e32 v51, 16, v52
	s_waitcnt vmcnt(14)
	v_mul_f16_sdwa v75, v51, v72 dst_sel:DWORD dst_unused:UNUSED_PAD src0_sel:DWORD src1_sel:WORD_1
	v_fma_f16 v75, v52, v72, -v75
	v_mul_f16_sdwa v52, v52, v72 dst_sel:DWORD dst_unused:UNUSED_PAD src0_sel:DWORD src1_sel:WORD_1
	v_fma_f16 v72, v51, v72, v52
	ds_read2st64_b32 v[51:52], v34 offset0:16 offset1:24
	v_pack_b32_f16 v71, v71, v76
	v_pack_b32_f16 v72, v75, v72
	ds_write2st64_b32 v34, v71, v72 offset1:8
	s_waitcnt lgkmcnt(1)
	v_lshrrev_b32_e32 v71, 16, v51
	s_waitcnt vmcnt(13)
	v_mul_f16_sdwa v72, v51, v73 dst_sel:DWORD dst_unused:UNUSED_PAD src0_sel:DWORD src1_sel:WORD_1
	v_fma_f16 v72, v71, v73, v72
	v_mul_f16_sdwa v71, v71, v73 dst_sel:DWORD dst_unused:UNUSED_PAD src0_sel:DWORD src1_sel:WORD_1
	v_fma_f16 v71, v51, v73, -v71
	v_lshrrev_b32_e32 v51, 16, v52
	s_waitcnt vmcnt(12)
	v_mul_f16_sdwa v73, v51, v74 dst_sel:DWORD dst_unused:UNUSED_PAD src0_sel:DWORD src1_sel:WORD_1
	v_fma_f16 v73, v52, v74, -v73
	v_mul_f16_sdwa v52, v52, v74 dst_sel:DWORD dst_unused:UNUSED_PAD src0_sel:DWORD src1_sel:WORD_1
	v_fma_f16 v74, v51, v74, v52
	ds_read2st64_b32 v[51:52], v34 offset0:32 offset1:40
	v_pack_b32_f16 v71, v71, v72
	v_pack_b32_f16 v72, v73, v74
	ds_write2st64_b32 v34, v71, v72 offset0:16 offset1:24
	s_waitcnt lgkmcnt(1)
	v_lshrrev_b32_e32 v71, 16, v51
	s_waitcnt vmcnt(11)
	v_mul_f16_sdwa v72, v51, v53 dst_sel:DWORD dst_unused:UNUSED_PAD src0_sel:DWORD src1_sel:WORD_1
	v_fma_f16 v72, v71, v53, v72
	v_mul_f16_sdwa v71, v71, v53 dst_sel:DWORD dst_unused:UNUSED_PAD src0_sel:DWORD src1_sel:WORD_1
	v_fma_f16 v53, v51, v53, -v71
	v_lshrrev_b32_e32 v71, 16, v52
	s_waitcnt vmcnt(10)
	v_mul_f16_sdwa v51, v71, v54 dst_sel:DWORD dst_unused:UNUSED_PAD src0_sel:DWORD src1_sel:WORD_1
	v_fma_f16 v73, v52, v54, -v51
	v_mul_f16_sdwa v74, v52, v54 dst_sel:DWORD dst_unused:UNUSED_PAD src0_sel:DWORD src1_sel:WORD_1
	ds_read2st64_b32 v[51:52], v34 offset0:48 offset1:56
	v_fma_f16 v54, v71, v54, v74
	v_pack_b32_f16 v53, v53, v72
	v_pack_b32_f16 v54, v73, v54
	ds_write2st64_b32 v34, v53, v54 offset0:32 offset1:40
	s_waitcnt lgkmcnt(1)
	v_lshrrev_b32_e32 v53, 16, v51
	s_waitcnt vmcnt(9)
	v_mul_f16_sdwa v54, v51, v55 dst_sel:DWORD dst_unused:UNUSED_PAD src0_sel:DWORD src1_sel:WORD_1
	v_fma_f16 v54, v53, v55, v54
	v_mul_f16_sdwa v53, v53, v55 dst_sel:DWORD dst_unused:UNUSED_PAD src0_sel:DWORD src1_sel:WORD_1
	v_fma_f16 v53, v51, v55, -v53
	v_lshrrev_b32_e32 v55, 16, v52
	s_waitcnt vmcnt(8)
	v_mul_f16_sdwa v51, v55, v58 dst_sel:DWORD dst_unused:UNUSED_PAD src0_sel:DWORD src1_sel:WORD_1
	v_fma_f16 v71, v52, v58, -v51
	v_mul_f16_sdwa v72, v52, v58 dst_sel:DWORD dst_unused:UNUSED_PAD src0_sel:DWORD src1_sel:WORD_1
	ds_read2st64_b32 v[51:52], v34 offset0:64 offset1:72
	v_fma_f16 v55, v55, v58, v72
	v_pack_b32_f16 v53, v53, v54
	v_pack_b32_f16 v54, v71, v55
	ds_write2st64_b32 v34, v53, v54 offset0:48 offset1:56
	s_waitcnt lgkmcnt(1)
	v_lshrrev_b32_e32 v53, 16, v51
	s_waitcnt vmcnt(7)
	v_mul_f16_sdwa v54, v51, v57 dst_sel:DWORD dst_unused:UNUSED_PAD src0_sel:DWORD src1_sel:WORD_1
	v_fma_f16 v54, v53, v57, v54
	v_mul_f16_sdwa v53, v53, v57 dst_sel:DWORD dst_unused:UNUSED_PAD src0_sel:DWORD src1_sel:WORD_1
	v_lshrrev_b32_e32 v55, 16, v52
	v_fma_f16 v53, v51, v57, -v53
	s_waitcnt vmcnt(6)
	v_mul_f16_sdwa v51, v55, v63 dst_sel:DWORD dst_unused:UNUSED_PAD src0_sel:DWORD src1_sel:WORD_1
	v_fma_f16 v57, v52, v63, -v51
	v_mul_f16_sdwa v58, v52, v63 dst_sel:DWORD dst_unused:UNUSED_PAD src0_sel:DWORD src1_sel:WORD_1
	ds_read2st64_b32 v[51:52], v34 offset0:80 offset1:88
	v_fma_f16 v55, v55, v63, v58
	v_pack_b32_f16 v53, v53, v54
	v_pack_b32_f16 v54, v57, v55
	ds_write2st64_b32 v34, v53, v54 offset0:64 offset1:72
	s_waitcnt lgkmcnt(1)
	v_lshrrev_b32_e32 v53, 16, v51
	s_waitcnt vmcnt(5)
	v_mul_f16_sdwa v54, v51, v66 dst_sel:DWORD dst_unused:UNUSED_PAD src0_sel:DWORD src1_sel:WORD_1
	v_fma_f16 v54, v53, v66, v54
	v_mul_f16_sdwa v53, v53, v66 dst_sel:DWORD dst_unused:UNUSED_PAD src0_sel:DWORD src1_sel:WORD_1
	v_lshrrev_b32_e32 v55, 16, v52
	v_fma_f16 v53, v51, v66, -v53
	v_pack_b32_f16 v53, v53, v54
	s_waitcnt vmcnt(2)
	v_mul_f16_sdwa v51, v55, v69 dst_sel:DWORD dst_unused:UNUSED_PAD src0_sel:DWORD src1_sel:WORD_1
	v_fma_f16 v57, v52, v69, -v51
	v_mul_f16_sdwa v58, v52, v69 dst_sel:DWORD dst_unused:UNUSED_PAD src0_sel:DWORD src1_sel:WORD_1
	ds_read2st64_b32 v[51:52], v34 offset0:96 offset1:104
	v_fma_f16 v55, v55, v69, v58
	v_pack_b32_f16 v54, v57, v55
	ds_write2st64_b32 v34, v53, v54 offset0:80 offset1:88
	s_waitcnt lgkmcnt(1)
	v_lshrrev_b32_e32 v53, 16, v51
	v_mul_f16_sdwa v54, v51, v67 dst_sel:DWORD dst_unused:UNUSED_PAD src0_sel:DWORD src1_sel:WORD_1
	v_fma_f16 v54, v53, v67, v54
	v_mul_f16_sdwa v53, v53, v67 dst_sel:DWORD dst_unused:UNUSED_PAD src0_sel:DWORD src1_sel:WORD_1
	v_lshrrev_b32_e32 v55, 16, v52
	v_fma_f16 v53, v51, v67, -v53
	v_mul_f16_sdwa v51, v55, v68 dst_sel:DWORD dst_unused:UNUSED_PAD src0_sel:DWORD src1_sel:WORD_1
	v_fma_f16 v57, v52, v68, -v51
	v_mul_f16_sdwa v58, v52, v68 dst_sel:DWORD dst_unused:UNUSED_PAD src0_sel:DWORD src1_sel:WORD_1
	ds_read2st64_b32 v[51:52], v34 offset0:112 offset1:120
	v_fma_f16 v55, v55, v68, v58
	v_pack_b32_f16 v53, v53, v54
	v_pack_b32_f16 v54, v57, v55
	ds_write2st64_b32 v34, v53, v54 offset0:96 offset1:104
	s_waitcnt lgkmcnt(1)
	v_lshrrev_b32_e32 v53, 16, v51
	s_waitcnt vmcnt(1)
	v_mul_f16_sdwa v54, v51, v62 dst_sel:DWORD dst_unused:UNUSED_PAD src0_sel:DWORD src1_sel:WORD_1
	v_fma_f16 v54, v53, v62, v54
	v_mul_f16_sdwa v53, v53, v62 dst_sel:DWORD dst_unused:UNUSED_PAD src0_sel:DWORD src1_sel:WORD_1
	v_fma_f16 v51, v51, v62, -v53
	v_lshrrev_b32_e32 v53, 16, v52
	s_waitcnt vmcnt(0)
	v_mul_f16_sdwa v55, v53, v64 dst_sel:DWORD dst_unused:UNUSED_PAD src0_sel:DWORD src1_sel:WORD_1
	v_fma_f16 v55, v52, v64, -v55
	v_mul_f16_sdwa v52, v52, v64 dst_sel:DWORD dst_unused:UNUSED_PAD src0_sel:DWORD src1_sel:WORD_1
	v_fma_f16 v52, v53, v64, v52
	v_pack_b32_f16 v51, v51, v54
	v_pack_b32_f16 v52, v55, v52
	ds_write2st64_b32 v34, v51, v52 offset0:112 offset1:120
	s_waitcnt lgkmcnt(0)
	s_barrier
	ds_read2st64_b32 v[51:52], v34 offset1:8
	ds_read2st64_b32 v[53:54], v34 offset0:64 offset1:72
	s_waitcnt lgkmcnt(0)
	v_pk_add_f16 v55, v51, v53 neg_lo:[0,1] neg_hi:[0,1]
	v_pk_add_f16 v64, v52, v54 neg_lo:[0,1] neg_hi:[0,1]
	ds_read2st64_b32 v[53:54], v34 offset0:32 offset1:40
	ds_read2st64_b32 v[57:58], v34 offset0:96 offset1:104
	v_pk_fma_f16 v66, v51, 2.0, v55 op_sel_hi:[1,0,1] neg_lo:[0,0,1] neg_hi:[0,0,1]
	v_pk_fma_f16 v67, v52, 2.0, v64 op_sel_hi:[1,0,1] neg_lo:[0,0,1] neg_hi:[0,0,1]
	ds_read2st64_b32 v[51:52], v34 offset0:16 offset1:24
	ds_read2st64_b32 v[62:63], v34 offset0:80 offset1:88
	v_lshrrev_b32_e32 v83, 16, v55
	s_waitcnt lgkmcnt(2)
	v_pk_add_f16 v68, v53, v57 neg_lo:[0,1] neg_hi:[0,1]
	v_pk_add_f16 v69, v54, v58 neg_lo:[0,1] neg_hi:[0,1]
	v_pk_fma_f16 v71, v53, 2.0, v68 op_sel_hi:[1,0,1] neg_lo:[0,0,1] neg_hi:[0,0,1]
	v_pk_fma_f16 v72, v54, 2.0, v69 op_sel_hi:[1,0,1] neg_lo:[0,0,1] neg_hi:[0,0,1]
	ds_read2st64_b32 v[53:54], v34 offset0:48 offset1:56
	ds_read2st64_b32 v[57:58], v34 offset0:112 offset1:120
	s_waitcnt lgkmcnt(2)
	v_pk_add_f16 v63, v52, v63 neg_lo:[0,1] neg_hi:[0,1]
	v_pk_add_f16 v62, v51, v62 neg_lo:[0,1] neg_hi:[0,1]
	v_pk_fma_f16 v73, v52, 2.0, v63 op_sel_hi:[1,0,1] neg_lo:[0,0,1] neg_hi:[0,0,1]
	v_pk_fma_f16 v51, v51, 2.0, v62 op_sel_hi:[1,0,1] neg_lo:[0,0,1] neg_hi:[0,0,1]
	s_waitcnt lgkmcnt(0)
	v_pk_add_f16 v52, v53, v57 neg_lo:[0,1] neg_hi:[0,1]
	v_pk_add_f16 v57, v54, v58 neg_lo:[0,1] neg_hi:[0,1]
	v_pk_fma_f16 v53, v53, 2.0, v52 op_sel_hi:[1,0,1] neg_lo:[0,0,1] neg_hi:[0,0,1]
	v_pk_fma_f16 v54, v54, 2.0, v57 op_sel_hi:[1,0,1] neg_lo:[0,0,1] neg_hi:[0,0,1]
	v_pk_add_f16 v58, v66, v71 neg_lo:[0,1] neg_hi:[0,1]
	v_pk_add_f16 v71, v51, v53 neg_lo:[0,1] neg_hi:[0,1]
	;; [unrolled: 1-line block ×4, first 2 shown]
	v_lshrrev_b32_e32 v53, 16, v58
	v_lshrrev_b32_e32 v54, 16, v72
	v_add_f16_sdwa v77, v58, v71 dst_sel:DWORD dst_unused:UNUSED_PAD src0_sel:DWORD src1_sel:WORD_1
	v_add_f16_sdwa v79, v72, v74 dst_sel:DWORD dst_unused:UNUSED_PAD src0_sel:DWORD src1_sel:WORD_1
	v_sub_f16_e32 v75, v53, v71
	v_sub_f16_e32 v76, v54, v74
	v_fma_f16 v78, v58, 2.0, -v77
	v_fma_f16 v80, v72, 2.0, -v79
	;; [unrolled: 1-line block ×4, first 2 shown]
	v_fma_f16 v81, v80, s8, v78
	v_fma_f16 v81, v54, s9, v81
	;; [unrolled: 1-line block ×3, first 2 shown]
	v_add_f16_sdwa v82, v55, v68 dst_sel:DWORD dst_unused:UNUSED_PAD src0_sel:DWORD src1_sel:WORD_1
	v_add_f16_sdwa v84, v62, v52 dst_sel:DWORD dst_unused:UNUSED_PAD src0_sel:DWORD src1_sel:WORD_1
	v_lshrrev_b32_e32 v85, 16, v62
	v_fma_f16 v80, v80, s8, v54
	v_sub_f16_e32 v68, v83, v68
	v_sub_f16_e32 v52, v85, v52
	v_fma_f16 v54, v84, s9, v82
	v_add_f16_sdwa v86, v64, v69 dst_sel:DWORD dst_unused:UNUSED_PAD src0_sel:DWORD src1_sel:WORD_1
	v_lshrrev_b32_e32 v87, 16, v64
	v_add_f16_sdwa v88, v63, v57 dst_sel:DWORD dst_unused:UNUSED_PAD src0_sel:DWORD src1_sel:WORD_1
	v_lshrrev_b32_e32 v89, 16, v63
	v_fma_f16 v90, v52, s9, v54
	v_fma_f16 v54, v52, s9, v68
	v_sub_f16_e32 v69, v87, v69
	v_sub_f16_e32 v57, v89, v57
	v_fma_f16 v91, v84, s8, v54
	v_fma_f16 v54, v88, s9, v86
	v_fma_f16 v78, v78, 2.0, -v81
	v_fma_f16 v53, v53, 2.0, -v80
	;; [unrolled: 1-line block ×4, first 2 shown]
	v_fma_f16 v92, v57, s9, v54
	v_fma_f16 v54, v57, s9, v69
	v_fma_f16 v97, v68, 2.0, -v91
	v_pack_b32_f16 v53, v78, v53
	v_fma_f16 v68, v83, 2.0, -v68
	v_fma_f16 v52, v85, 2.0, -v52
	v_fma_f16 v78, v62, s8, v55
	v_fma_f16 v93, v88, s8, v54
	v_fma_f16 v64, v64, 2.0, -v86
	v_fma_f16 v63, v63, 2.0, -v88
	v_fma_f16 v78, v52, s9, v78
	v_fma_f16 v52, v52, s8, v68
	v_fma_f16 v95, v69, 2.0, -v93
	v_fma_f16 v69, v87, 2.0, -v69
	;; [unrolled: 1-line block ×3, first 2 shown]
	v_fma_f16 v62, v62, s8, v52
	v_fma_f16 v52, v63, s8, v64
	v_fma_f16 v54, v82, 2.0, -v90
	v_fma_f16 v82, v57, s9, v52
	v_fma_f16 v52, v57, s8, v69
	;; [unrolled: 1-line block ×3, first 2 shown]
	v_fma_f16 v52, v55, 2.0, -v78
	v_fma_f16 v63, v64, 2.0, -v82
	;; [unrolled: 1-line block ×4, first 2 shown]
	v_fma_f16 v68, v63, s13, v52
	v_fma_f16 v83, v64, s15, v68
	;; [unrolled: 1-line block ×4, first 2 shown]
	v_fma_f16 v52, v52, 2.0, -v83
	v_fma_f16 v55, v55, 2.0, -v63
	;; [unrolled: 1-line block ×3, first 2 shown]
	v_pack_b32_f16 v52, v52, v55
	v_pk_fma_f16 v55, v66, 2.0, v58 op_sel_hi:[1,0,1] neg_lo:[0,0,1] neg_hi:[0,0,1]
	v_pk_fma_f16 v51, v51, 2.0, v71 op_sel_hi:[1,0,1] neg_lo:[0,0,1] neg_hi:[0,0,1]
	v_fma_f16 v96, v94, s12, v54
	v_pk_fma_f16 v58, v67, 2.0, v72 op_sel_hi:[1,0,1] neg_lo:[0,0,1] neg_hi:[0,0,1]
	v_pk_fma_f16 v64, v73, 2.0, v74 op_sel_hi:[1,0,1] neg_lo:[0,0,1] neg_hi:[0,0,1]
	v_pk_add_f16 v67, v55, v51 neg_lo:[0,1] neg_hi:[0,1]
	v_fma_f16 v96, v95, s14, v96
	v_fma_f16 v95, v95, s12, v97
	v_pk_fma_f16 v51, v55, 2.0, v67 op_sel_hi:[1,0,1] neg_lo:[0,0,1] neg_hi:[0,0,1]
	v_pk_add_f16 v55, v58, v64 neg_lo:[0,1] neg_hi:[0,1]
	v_fma_f16 v94, v94, s13, v95
	v_pk_fma_f16 v58, v58, 2.0, v55 op_sel_hi:[1,0,1] neg_lo:[0,0,1] neg_hi:[0,0,1]
	v_fma_f16 v54, v54, 2.0, -v96
	v_fma_f16 v95, v97, 2.0, -v94
	v_pk_add_f16 v66, v51, v58 neg_lo:[0,1] neg_hi:[0,1]
	v_pack_b32_f16 v54, v54, v95
	v_pk_fma_f16 v51, v51, 2.0, v66 op_sel_hi:[1,0,1] neg_lo:[0,0,1] neg_hi:[0,0,1]
	s_barrier
	ds_write_b128 v56, v[51:54]
	v_fma_f16 v51, v79, s9, v77
	v_fma_f16 v58, v76, s9, v51
	;; [unrolled: 1-line block ×8, first 2 shown]
	v_fma_f16 v51, v77, 2.0, -v58
	v_fma_f16 v52, v75, 2.0, -v64
	;; [unrolled: 1-line block ×4, first 2 shown]
	v_pack_b32_f16 v54, v53, v54
	v_pack_b32_f16 v53, v51, v52
	v_lshrrev_b32_e32 v51, 16, v67
	v_add_f16_sdwa v73, v67, v55 dst_sel:DWORD dst_unused:UNUSED_PAD src0_sel:DWORD src1_sel:WORD_1
	v_sub_f16_e32 v55, v51, v55
	v_fma_f16 v52, v67, 2.0, -v73
	v_fma_f16 v51, v51, 2.0, -v55
	v_pack_b32_f16 v51, v52, v51
	v_fma_f16 v52, v82, s15, v78
	v_fma_f16 v74, v57, s14, v52
	;; [unrolled: 1-line block ×4, first 2 shown]
	v_fma_f16 v52, v78, 2.0, -v74
	v_fma_f16 v62, v62, 2.0, -v57
	v_pack_b32_f16 v52, v52, v62
	ds_write_b128 v56, v[51:54] offset:16
	v_pack_b32_f16 v69, v96, v94
	v_pack_b32_f16 v68, v81, v80
	;; [unrolled: 1-line block ×7, first 2 shown]
	ds_write_b128 v56, v[66:69] offset:32
	ds_write_b128 v56, v[51:54] offset:48
	s_waitcnt lgkmcnt(0)
	s_barrier
	ds_read2st64_b32 v[51:52], v34 offset0:32 offset1:40
	s_waitcnt lgkmcnt(0)
	v_lshrrev_b32_e32 v53, 16, v51
	v_mul_f16_sdwa v54, v21, v51 dst_sel:DWORD dst_unused:UNUSED_PAD src0_sel:WORD_1 src1_sel:DWORD
	v_fma_f16 v55, v21, v53, -v54
	v_mul_f16_sdwa v53, v21, v53 dst_sel:DWORD dst_unused:UNUSED_PAD src0_sel:WORD_1 src1_sel:DWORD
	v_fma_f16 v56, v21, v51, v53
	ds_read2st64_b32 v[53:54], v34 offset0:64 offset1:72
	v_lshrrev_b32_e32 v51, 16, v52
	v_mul_f16_sdwa v57, v21, v51 dst_sel:DWORD dst_unused:UNUSED_PAD src0_sel:WORD_1 src1_sel:DWORD
	v_fma_f16 v57, v21, v52, v57
	v_mul_f16_sdwa v52, v21, v52 dst_sel:DWORD dst_unused:UNUSED_PAD src0_sel:WORD_1 src1_sel:DWORD
	v_fma_f16 v58, v21, v51, -v52
	s_waitcnt lgkmcnt(0)
	v_lshrrev_b32_e32 v51, 16, v53
	v_mul_f16_sdwa v52, v22, v53 dst_sel:DWORD dst_unused:UNUSED_PAD src0_sel:WORD_1 src1_sel:DWORD
	v_fma_f16 v62, v22, v51, -v52
	v_mul_f16_sdwa v51, v22, v51 dst_sel:DWORD dst_unused:UNUSED_PAD src0_sel:WORD_1 src1_sel:DWORD
	v_fma_f16 v63, v22, v53, v51
	ds_read2st64_b32 v[51:52], v34 offset0:96 offset1:104
	v_lshrrev_b32_e32 v53, 16, v54
	v_mul_f16_sdwa v64, v22, v53 dst_sel:DWORD dst_unused:UNUSED_PAD src0_sel:WORD_1 src1_sel:DWORD
	v_fma_f16 v64, v22, v54, v64
	v_mul_f16_sdwa v54, v22, v54 dst_sel:DWORD dst_unused:UNUSED_PAD src0_sel:WORD_1 src1_sel:DWORD
	v_fma_f16 v66, v22, v53, -v54
	;; [unrolled: 12-line block ×4, first 2 shown]
	s_waitcnt lgkmcnt(0)
	v_lshrrev_b32_e32 v21, 16, v51
	v_mul_f16_sdwa v53, v22, v51 dst_sel:DWORD dst_unused:UNUSED_PAD src0_sel:WORD_1 src1_sel:DWORD
	v_fma_f16 v76, v22, v21, -v53
	ds_read2st64_b32 v[53:54], v34 offset0:112 offset1:120
	v_mul_f16_sdwa v21, v22, v21 dst_sel:DWORD dst_unused:UNUSED_PAD src0_sel:WORD_1 src1_sel:DWORD
	v_fma_f16 v77, v22, v51, v21
	v_lshrrev_b32_e32 v21, 16, v52
	v_mul_f16_sdwa v51, v22, v21 dst_sel:DWORD dst_unused:UNUSED_PAD src0_sel:WORD_1 src1_sel:DWORD
	v_fma_f16 v78, v22, v52, v51
	v_mul_f16_sdwa v51, v22, v52 dst_sel:DWORD dst_unused:UNUSED_PAD src0_sel:WORD_1 src1_sel:DWORD
	v_fma_f16 v79, v22, v21, -v51
	s_waitcnt lgkmcnt(0)
	v_lshrrev_b32_e32 v21, 16, v53
	v_mul_f16_sdwa v22, v23, v53 dst_sel:DWORD dst_unused:UNUSED_PAD src0_sel:WORD_1 src1_sel:DWORD
	v_fma_f16 v80, v23, v21, -v22
	v_mul_f16_sdwa v21, v23, v21 dst_sel:DWORD dst_unused:UNUSED_PAD src0_sel:WORD_1 src1_sel:DWORD
	v_fma_f16 v53, v23, v53, v21
	ds_read2st64_b32 v[21:22], v34 offset1:8
	v_lshrrev_b32_e32 v51, 16, v54
	v_mul_f16_sdwa v52, v23, v51 dst_sel:DWORD dst_unused:UNUSED_PAD src0_sel:WORD_1 src1_sel:DWORD
	v_fma_f16 v81, v23, v54, v52
	v_mul_f16_sdwa v52, v23, v54 dst_sel:DWORD dst_unused:UNUSED_PAD src0_sel:WORD_1 src1_sel:DWORD
	v_fma_f16 v23, v23, v51, -v52
	s_waitcnt lgkmcnt(0)
	v_lshrrev_b32_e32 v52, 16, v21
	v_sub_f16_e32 v51, v21, v63
	v_sub_f16_e32 v54, v52, v62
	;; [unrolled: 1-line block ×4, first 2 shown]
	v_fma_f16 v52, v52, 2.0, -v54
	v_fma_f16 v56, v56, 2.0, -v62
	;; [unrolled: 1-line block ×4, first 2 shown]
	v_sub_f16_e32 v56, v21, v56
	v_sub_f16_e32 v55, v52, v55
	v_fma_f16 v21, v21, 2.0, -v56
	v_fma_f16 v52, v52, 2.0, -v55
	v_add_f16_e32 v63, v51, v63
	v_sub_f16_e32 v62, v54, v62
	v_pack_b32_f16 v21, v21, v52
	v_fma_f16 v51, v51, 2.0, -v63
	v_fma_f16 v52, v54, 2.0, -v62
	v_pack_b32_f16 v54, v51, v52
	ds_read2st64_b32 v[51:52], v34 offset0:16 offset1:24
	s_waitcnt lgkmcnt(0)
	s_barrier
	ds_write2_b32 v59, v21, v54 offset1:16
	v_pack_b32_f16 v21, v56, v55
	v_pack_b32_f16 v54, v63, v62
	ds_write2_b32 v59, v21, v54 offset0:32 offset1:48
	v_lshrrev_b32_e32 v54, 16, v22
	v_sub_f16_e32 v21, v22, v64
	v_sub_f16_e32 v55, v54, v66
	v_sub_f16_e32 v56, v57, v69
	v_sub_f16_e32 v59, v58, v71
	v_fma_f16 v22, v22, 2.0, -v21
	v_fma_f16 v54, v54, 2.0, -v55
	v_fma_f16 v57, v57, 2.0, -v56
	v_fma_f16 v58, v58, 2.0, -v59
	v_sub_f16_e32 v57, v22, v57
	v_sub_f16_e32 v58, v54, v58
	v_fma_f16 v22, v22, 2.0, -v57
	v_fma_f16 v54, v54, 2.0, -v58
	v_pack_b32_f16 v22, v22, v54
	v_add_f16_e32 v54, v21, v59
	v_sub_f16_e32 v56, v55, v56
	v_fma_f16 v21, v21, 2.0, -v54
	v_fma_f16 v55, v55, 2.0, -v56
	v_pack_b32_f16 v21, v21, v55
	ds_write2_b32 v60, v22, v21 offset1:16
	v_pack_b32_f16 v21, v57, v58
	v_pack_b32_f16 v22, v54, v56
	ds_write2_b32 v60, v21, v22 offset0:32 offset1:48
	v_lshrrev_b32_e32 v22, 16, v51
	v_sub_f16_e32 v21, v51, v77
	v_sub_f16_e32 v54, v22, v76
	v_sub_f16_e32 v53, v73, v53
	v_sub_f16_e32 v55, v72, v80
	v_fma_f16 v22, v22, 2.0, -v54
	v_fma_f16 v56, v73, 2.0, -v53
	;; [unrolled: 1-line block ×4, first 2 shown]
	v_sub_f16_e32 v56, v51, v56
	v_sub_f16_e32 v57, v22, v57
	v_fma_f16 v51, v51, 2.0, -v56
	v_fma_f16 v22, v22, 2.0, -v57
	v_pack_b32_f16 v22, v51, v22
	v_add_f16_e32 v51, v21, v55
	v_sub_f16_e32 v53, v54, v53
	v_fma_f16 v21, v21, 2.0, -v51
	v_fma_f16 v54, v54, 2.0, -v53
	v_pack_b32_f16 v21, v21, v54
	ds_write2_b32 v65, v22, v21 offset1:16
	v_pack_b32_f16 v21, v56, v57
	v_pack_b32_f16 v22, v51, v53
	ds_write2_b32 v65, v21, v22 offset0:32 offset1:48
	v_lshrrev_b32_e32 v21, 16, v52
	v_sub_f16_e32 v22, v52, v78
	v_sub_f16_e32 v51, v21, v79
	;; [unrolled: 1-line block ×4, first 2 shown]
	v_fma_f16 v52, v52, 2.0, -v22
	v_fma_f16 v21, v21, 2.0, -v51
	;; [unrolled: 1-line block ×4, first 2 shown]
	v_sub_f16_e32 v54, v52, v54
	v_sub_f16_e32 v55, v21, v55
	v_add_f16_e32 v23, v22, v23
	v_sub_f16_e32 v53, v51, v53
	v_fma_f16 v52, v52, 2.0, -v54
	v_fma_f16 v21, v21, 2.0, -v55
	;; [unrolled: 1-line block ×4, first 2 shown]
	v_pack_b32_f16 v21, v52, v21
	v_pack_b32_f16 v22, v22, v51
	ds_write2_b32 v61, v21, v22 offset1:16
	v_pack_b32_f16 v21, v54, v55
	v_pack_b32_f16 v22, v23, v53
	ds_write2_b32 v61, v21, v22 offset0:32 offset1:48
	s_waitcnt lgkmcnt(0)
	s_barrier
	ds_read2st64_b32 v[21:22], v34 offset1:8
	ds_read2st64_b32 v[51:52], v34 offset0:16 offset1:24
	s_waitcnt lgkmcnt(1)
	v_lshrrev_b32_e32 v23, 16, v22
	s_waitcnt lgkmcnt(0)
	v_lshrrev_b32_e32 v53, 16, v51
	v_mul_f16_sdwa v55, v6, v53 dst_sel:DWORD dst_unused:UNUSED_PAD src0_sel:WORD_1 src1_sel:DWORD
	v_lshrrev_b32_e32 v54, 16, v52
	v_fma_f16 v55, v6, v51, v55
	v_mul_f16_sdwa v51, v6, v51 dst_sel:DWORD dst_unused:UNUSED_PAD src0_sel:WORD_1 src1_sel:DWORD
	v_fma_f16 v53, v6, v53, -v51
	v_mul_f16_sdwa v6, v7, v54 dst_sel:DWORD dst_unused:UNUSED_PAD src0_sel:WORD_1 src1_sel:DWORD
	v_fma_f16 v56, v7, v52, v6
	v_mul_f16_sdwa v6, v7, v52 dst_sel:DWORD dst_unused:UNUSED_PAD src0_sel:WORD_1 src1_sel:DWORD
	ds_read2st64_b32 v[51:52], v34 offset0:32 offset1:40
	v_fma_f16 v7, v7, v54, -v6
	v_mul_f16_sdwa v6, v5, v22 dst_sel:DWORD dst_unused:UNUSED_PAD src0_sel:WORD_1 src1_sel:DWORD
	v_fma_f16 v54, v5, v23, -v6
	v_mul_f16_sdwa v6, v5, v23 dst_sel:DWORD dst_unused:UNUSED_PAD src0_sel:WORD_1 src1_sel:DWORD
	v_fma_f16 v22, v5, v22, v6
	s_waitcnt lgkmcnt(0)
	v_lshrrev_b32_e32 v5, 16, v51
	v_mul_f16_sdwa v6, v8, v51 dst_sel:DWORD dst_unused:UNUSED_PAD src0_sel:WORD_1 src1_sel:DWORD
	v_fma_f16 v23, v8, v5, -v6
	v_mul_f16_sdwa v5, v8, v5 dst_sel:DWORD dst_unused:UNUSED_PAD src0_sel:WORD_1 src1_sel:DWORD
	v_fma_f16 v8, v8, v51, v5
	ds_read2st64_b32 v[5:6], v34 offset0:48 offset1:56
	v_lshrrev_b32_e32 v51, 16, v52
	v_mul_f16_sdwa v57, v1, v51 dst_sel:DWORD dst_unused:UNUSED_PAD src0_sel:WORD_1 src1_sel:DWORD
	v_fma_f16 v57, v1, v52, v57
	v_mul_f16_sdwa v52, v1, v52 dst_sel:DWORD dst_unused:UNUSED_PAD src0_sel:WORD_1 src1_sel:DWORD
	v_fma_f16 v51, v1, v51, -v52
	s_waitcnt lgkmcnt(0)
	v_lshrrev_b32_e32 v1, 16, v5
	v_mul_f16_sdwa v52, v2, v5 dst_sel:DWORD dst_unused:UNUSED_PAD src0_sel:WORD_1 src1_sel:DWORD
	v_fma_f16 v52, v2, v1, -v52
	v_mul_f16_sdwa v1, v2, v1 dst_sel:DWORD dst_unused:UNUSED_PAD src0_sel:WORD_1 src1_sel:DWORD
	v_fma_f16 v5, v2, v5, v1
	ds_read2st64_b32 v[1:2], v34 offset0:64 offset1:72
	v_lshrrev_b32_e32 v58, 16, v6
	v_mul_f16_sdwa v59, v3, v58 dst_sel:DWORD dst_unused:UNUSED_PAD src0_sel:WORD_1 src1_sel:DWORD
	v_fma_f16 v59, v3, v6, v59
	v_mul_f16_sdwa v6, v3, v6 dst_sel:DWORD dst_unused:UNUSED_PAD src0_sel:WORD_1 src1_sel:DWORD
	v_fma_f16 v6, v3, v58, -v6
	;; [unrolled: 12-line block ×5, first 2 shown]
	s_waitcnt lgkmcnt(0)
	v_lshrrev_b32_e32 v12, 16, v3
	v_mul_f16_sdwa v24, v25, v3 dst_sel:DWORD dst_unused:UNUSED_PAD src0_sel:WORD_1 src1_sel:DWORD
	v_fma_f16 v24, v25, v12, -v24
	v_mul_f16_sdwa v12, v25, v12 dst_sel:DWORD dst_unused:UNUSED_PAD src0_sel:WORD_1 src1_sel:DWORD
	v_fma_f16 v3, v25, v3, v12
	v_lshrrev_b32_e32 v12, 16, v4
	v_mul_f16_sdwa v25, v26, v12 dst_sel:DWORD dst_unused:UNUSED_PAD src0_sel:WORD_1 src1_sel:DWORD
	v_fma_f16 v25, v26, v4, v25
	v_mul_f16_sdwa v4, v26, v4 dst_sel:DWORD dst_unused:UNUSED_PAD src0_sel:WORD_1 src1_sel:DWORD
	v_fma_f16 v4, v26, v12, -v4
	v_sub_f16_e32 v12, v21, v60
	v_lshrrev_b32_e32 v26, 16, v21
	v_sub_f16_e32 v60, v23, v64
	v_sub_f16_e32 v10, v55, v10
	;; [unrolled: 1-line block ×5, first 2 shown]
	v_fma_f16 v23, v23, 2.0, -v60
	v_sub_f16_e32 v62, v53, v62
	v_sub_f16_e32 v3, v5, v3
	v_fma_f16 v52, v52, 2.0, -v24
	v_add_f16_e32 v60, v12, v60
	v_add_f16_e32 v24, v10, v24
	v_fma_f16 v21, v21, 2.0, -v12
	v_fma_f16 v8, v8, 2.0, -v1
	;; [unrolled: 1-line block ×4, first 2 shown]
	v_sub_f16_e32 v1, v58, v1
	v_fma_f16 v12, v12, 2.0, -v60
	v_sub_f16_e32 v3, v62, v3
	v_fma_f16 v10, v10, 2.0, -v24
	v_fma_f16 v26, v26, 2.0, -v58
	;; [unrolled: 1-line block ×5, first 2 shown]
	v_fma_f16 v64, v10, s8, v12
	v_fma_f16 v64, v62, s9, v64
	;; [unrolled: 1-line block ×3, first 2 shown]
	v_sub_f16_e32 v61, v22, v61
	v_sub_f16_e32 v2, v51, v2
	;; [unrolled: 1-line block ×4, first 2 shown]
	v_fma_f16 v10, v10, s8, v62
	v_sub_f16_e32 v9, v54, v9
	v_sub_f16_e32 v62, v57, v65
	v_fma_f16 v51, v51, 2.0, -v2
	v_sub_f16_e32 v11, v7, v11
	v_sub_f16_e32 v25, v59, v25
	v_fma_f16 v6, v6, 2.0, -v4
	v_add_f16_e32 v2, v61, v2
	v_add_f16_e32 v4, v63, v4
	v_fma_f16 v22, v22, 2.0, -v61
	v_fma_f16 v54, v54, 2.0, -v9
	;; [unrolled: 1-line block ×6, first 2 shown]
	v_sub_f16_e32 v62, v9, v62
	v_fma_f16 v61, v61, 2.0, -v2
	v_sub_f16_e32 v25, v11, v25
	v_fma_f16 v63, v63, 2.0, -v4
	v_fma_f16 v9, v9, 2.0, -v62
	;; [unrolled: 1-line block ×3, first 2 shown]
	v_fma_f16 v65, v63, s8, v61
	v_sub_f16_e32 v8, v21, v8
	v_sub_f16_e32 v23, v26, v23
	;; [unrolled: 1-line block ×8, first 2 shown]
	v_fma_f16 v65, v11, s9, v65
	v_fma_f16 v11, v11, s8, v9
	v_fma_f16 v21, v21, 2.0, -v8
	v_fma_f16 v26, v26, 2.0, -v23
	v_fma_f16 v55, v55, 2.0, -v5
	v_fma_f16 v53, v53, 2.0, -v52
	v_fma_f16 v22, v22, 2.0, -v57
	v_fma_f16 v54, v54, 2.0, -v51
	v_fma_f16 v56, v56, 2.0, -v59
	v_fma_f16 v7, v7, 2.0, -v6
	v_fma_f16 v11, v63, s8, v11
	v_fma_f16 v12, v12, 2.0, -v64
	v_fma_f16 v61, v61, 2.0, -v65
	v_sub_f16_e32 v55, v21, v55
	v_sub_f16_e32 v53, v26, v53
	;; [unrolled: 1-line block ×4, first 2 shown]
	v_fma_f16 v58, v58, 2.0, -v10
	v_fma_f16 v9, v9, 2.0, -v11
	v_fma_f16 v63, v61, s13, v12
	v_fma_f16 v21, v21, 2.0, -v55
	v_fma_f16 v26, v26, 2.0, -v53
	;; [unrolled: 1-line block ×4, first 2 shown]
	v_fma_f16 v63, v9, s15, v63
	v_fma_f16 v9, v9, s13, v58
	v_sub_f16_e32 v22, v21, v22
	v_sub_f16_e32 v54, v26, v54
	v_fma_f16 v9, v61, s12, v9
	v_fma_f16 v21, v21, 2.0, -v22
	v_fma_f16 v26, v26, 2.0, -v54
	v_pack_b32_f16 v21, v21, v26
	v_fma_f16 v12, v12, 2.0, -v63
	v_fma_f16 v26, v58, 2.0, -v9
	v_pack_b32_f16 v12, v12, v26
	s_barrier
	ds_write2st64_b32 v70, v21, v12 offset1:1
	v_fma_f16 v12, v24, s9, v60
	v_fma_f16 v12, v3, s9, v12
	v_fma_f16 v3, v3, s9, v1
	v_fma_f16 v3, v24, s8, v3
	v_fma_f16 v24, v25, s9, v62
	v_fma_f16 v21, v4, s9, v2
	v_fma_f16 v4, v4, s8, v24
	v_add_f16_e32 v24, v8, v52
	v_add_f16_e32 v6, v57, v6
	v_fma_f16 v21, v25, s9, v21
	v_sub_f16_e32 v5, v23, v5
	v_fma_f16 v8, v8, 2.0, -v24
	v_sub_f16_e32 v25, v51, v59
	v_fma_f16 v26, v57, 2.0, -v6
	v_fma_f16 v23, v23, 2.0, -v5
	;; [unrolled: 1-line block ×3, first 2 shown]
	v_fma_f16 v52, v26, s8, v8
	v_fma_f16 v52, v51, s9, v52
	;; [unrolled: 1-line block ×4, first 2 shown]
	v_fma_f16 v51, v60, 2.0, -v12
	v_fma_f16 v2, v2, 2.0, -v21
	;; [unrolled: 1-line block ×4, first 2 shown]
	v_fma_f16 v58, v2, s12, v51
	v_fma_f16 v58, v57, s14, v58
	;; [unrolled: 1-line block ×4, first 2 shown]
	v_fma_f16 v2, v8, 2.0, -v52
	v_fma_f16 v8, v23, 2.0, -v26
	v_pack_b32_f16 v2, v2, v8
	v_fma_f16 v8, v51, 2.0, -v58
	v_fma_f16 v51, v6, s9, v24
	v_fma_f16 v51, v25, s9, v51
	;; [unrolled: 1-line block ×8, first 2 shown]
	v_fma_f16 v24, v24, 2.0, -v51
	v_fma_f16 v5, v5, 2.0, -v6
	;; [unrolled: 1-line block ×4, first 2 shown]
	v_fma_f16 v23, v65, s15, v64
	v_pack_b32_f16 v5, v24, v5
	v_pack_b32_f16 v3, v12, v3
	v_fma_f16 v1, v1, 2.0, -v57
	v_fma_f16 v23, v11, s14, v23
	v_fma_f16 v11, v11, s15, v10
	ds_write2st64_b32 v70, v5, v3 offset0:6 offset1:7
	v_pack_b32_f16 v3, v22, v54
	v_pack_b32_f16 v5, v63, v9
	;; [unrolled: 1-line block ×3, first 2 shown]
	v_add_f16_e32 v7, v55, v7
	v_sub_f16_e32 v8, v53, v56
	v_fma_f16 v11, v65, s13, v11
	ds_write2st64_b32 v70, v3, v5 offset0:8 offset1:9
	v_pack_b32_f16 v3, v52, v26
	v_pack_b32_f16 v5, v58, v57
	ds_write2st64_b32 v70, v2, v1 offset0:2 offset1:3
	v_fma_f16 v1, v55, 2.0, -v7
	v_fma_f16 v2, v53, 2.0, -v8
	;; [unrolled: 1-line block ×4, first 2 shown]
	ds_write2st64_b32 v70, v3, v5 offset0:10 offset1:11
	v_pack_b32_f16 v3, v7, v8
	v_pack_b32_f16 v5, v23, v11
	;; [unrolled: 1-line block ×3, first 2 shown]
	v_mad_u64_u32 v[1:2], s[6:7], s2, v33, 0
	v_pack_b32_f16 v10, v53, v10
	ds_write2st64_b32 v70, v3, v5 offset0:12 offset1:13
	v_pack_b32_f16 v3, v51, v6
	v_pack_b32_f16 v4, v25, v4
	ds_write2st64_b32 v70, v21, v10 offset0:4 offset1:5
	ds_write2st64_b32 v70, v3, v4 offset0:14 offset1:15
	s_waitcnt lgkmcnt(0)
	s_barrier
	ds_read2st64_b32 v[4:5], v34 offset1:8
	ds_read2st64_b32 v[6:7], v34 offset0:16 offset1:24
	ds_read2st64_b32 v[8:9], v34 offset0:32 offset1:40
	;; [unrolled: 1-line block ×5, first 2 shown]
	s_waitcnt lgkmcnt(4)
	v_lshrrev_b32_e32 v12, 16, v6
	v_mul_f16_sdwa v54, v17, v12 dst_sel:DWORD dst_unused:UNUSED_PAD src0_sel:WORD_1 src1_sel:DWORD
	v_mad_u64_u32 v[2:3], s[2:3], s3, v33, v[2:3]
	s_waitcnt lgkmcnt(3)
	v_lshrrev_b32_e32 v33, 16, v8
	v_fma_f16 v54, v17, v6, v54
	v_mul_f16_sdwa v6, v17, v6 dst_sel:DWORD dst_unused:UNUSED_PAD src0_sel:WORD_1 src1_sel:DWORD
	s_waitcnt lgkmcnt(2)
	v_lshrrev_b32_e32 v51, 16, v10
	v_fma_f16 v6, v17, v12, -v6
	v_mul_f16_sdwa v12, v18, v33 dst_sel:DWORD dst_unused:UNUSED_PAD src0_sel:WORD_1 src1_sel:DWORD
	v_fma_f16 v12, v18, v8, v12
	v_mul_f16_sdwa v8, v18, v8 dst_sel:DWORD dst_unused:UNUSED_PAD src0_sel:WORD_1 src1_sel:DWORD
	v_mul_f16_sdwa v17, v19, v51 dst_sel:DWORD dst_unused:UNUSED_PAD src0_sel:WORD_1 src1_sel:DWORD
	s_waitcnt lgkmcnt(1)
	v_lshrrev_b32_e32 v52, 16, v21
	v_fma_f16 v8, v18, v33, -v8
	v_fma_f16 v33, v19, v10, v17
	v_mul_f16_sdwa v10, v19, v10 dst_sel:DWORD dst_unused:UNUSED_PAD src0_sel:WORD_1 src1_sel:DWORD
	v_mul_f16_sdwa v17, v20, v21 dst_sel:DWORD dst_unused:UNUSED_PAD src0_sel:WORD_1 src1_sel:DWORD
	v_fma_f16 v10, v19, v51, -v10
	v_fma_f16 v19, v20, v52, -v17
	v_mul_f16_sdwa v17, v20, v52 dst_sel:DWORD dst_unused:UNUSED_PAD src0_sel:WORD_1 src1_sel:DWORD
	v_fma_f16 v20, v20, v21, v17
	v_lshrrev_b32_e32 v21, 16, v7
	v_mul_f16_sdwa v51, v13, v21 dst_sel:DWORD dst_unused:UNUSED_PAD src0_sel:WORD_1 src1_sel:DWORD
	v_fma_f16 v51, v13, v7, v51
	v_mul_f16_sdwa v7, v13, v7 dst_sel:DWORD dst_unused:UNUSED_PAD src0_sel:WORD_1 src1_sel:DWORD
	v_lshrrev_b32_e32 v52, 16, v9
	ds_read2st64_b32 v[25:26], v34 offset0:96 offset1:104
	v_fma_f16 v7, v13, v21, -v7
	v_mul_f16_sdwa v13, v14, v52 dst_sel:DWORD dst_unused:UNUSED_PAD src0_sel:WORD_1 src1_sel:DWORD
	v_fma_f16 v13, v14, v9, v13
	v_mul_f16_sdwa v9, v14, v9 dst_sel:DWORD dst_unused:UNUSED_PAD src0_sel:WORD_1 src1_sel:DWORD
	v_lshrrev_b32_e32 v21, 16, v11
	v_fma_f16 v9, v14, v52, -v9
	v_mul_f16_sdwa v14, v15, v21 dst_sel:DWORD dst_unused:UNUSED_PAD src0_sel:WORD_1 src1_sel:DWORD
	s_waitcnt lgkmcnt(1)
	v_lshrrev_b32_e32 v53, 16, v23
	ds_read2st64_b32 v[17:18], v34 offset0:112 offset1:120
	v_fma_f16 v14, v15, v11, v14
	v_mul_f16_sdwa v11, v15, v11 dst_sel:DWORD dst_unused:UNUSED_PAD src0_sel:WORD_1 src1_sel:DWORD
	v_lshrrev_b32_e32 v52, 16, v22
	v_fma_f16 v11, v15, v21, -v11
	v_mul_f16_sdwa v15, v16, v52 dst_sel:DWORD dst_unused:UNUSED_PAD src0_sel:WORD_1 src1_sel:DWORD
	v_mul_f16_sdwa v55, v30, v53 dst_sel:DWORD dst_unused:UNUSED_PAD src0_sel:WORD_1 src1_sel:DWORD
	v_fma_f16 v15, v16, v22, v15
	v_mul_f16_sdwa v21, v16, v22 dst_sel:DWORD dst_unused:UNUSED_PAD src0_sel:WORD_1 src1_sel:DWORD
	s_waitcnt lgkmcnt(1)
	v_lshrrev_b32_e32 v22, 16, v25
	v_fma_f16 v55, v30, v23, v55
	v_mul_f16_sdwa v23, v30, v23 dst_sel:DWORD dst_unused:UNUSED_PAD src0_sel:WORD_1 src1_sel:DWORD
	v_fma_f16 v23, v30, v53, -v23
	v_mul_f16_sdwa v30, v31, v22 dst_sel:DWORD dst_unused:UNUSED_PAD src0_sel:WORD_1 src1_sel:DWORD
	v_fma_f16 v30, v31, v25, v30
	v_mul_f16_sdwa v25, v31, v25 dst_sel:DWORD dst_unused:UNUSED_PAD src0_sel:WORD_1 src1_sel:DWORD
	v_fma_f16 v16, v16, v52, -v21
	s_waitcnt lgkmcnt(0)
	v_lshrrev_b32_e32 v21, 16, v17
	v_fma_f16 v22, v31, v22, -v25
	v_mul_f16_sdwa v25, v32, v17 dst_sel:DWORD dst_unused:UNUSED_PAD src0_sel:WORD_1 src1_sel:DWORD
	v_fma_f16 v25, v32, v21, -v25
	v_mul_f16_sdwa v21, v32, v21 dst_sel:DWORD dst_unused:UNUSED_PAD src0_sel:WORD_1 src1_sel:DWORD
	v_fma_f16 v17, v32, v17, v21
	v_lshrrev_b32_e32 v21, 16, v24
	v_mul_f16_sdwa v32, v27, v21 dst_sel:DWORD dst_unused:UNUSED_PAD src0_sel:WORD_1 src1_sel:DWORD
	v_fma_f16 v32, v27, v24, v32
	v_mul_f16_sdwa v24, v27, v24 dst_sel:DWORD dst_unused:UNUSED_PAD src0_sel:WORD_1 src1_sel:DWORD
	v_lshrrev_b32_e32 v53, 16, v18
	v_lshrrev_b32_e32 v31, 16, v26
	v_fma_f16 v21, v27, v21, -v24
	v_mul_f16_sdwa v27, v29, v53 dst_sel:DWORD dst_unused:UNUSED_PAD src0_sel:WORD_1 src1_sel:DWORD
	v_mul_f16_sdwa v24, v28, v31 dst_sel:DWORD dst_unused:UNUSED_PAD src0_sel:WORD_1 src1_sel:DWORD
	v_fma_f16 v27, v29, v18, v27
	v_mul_f16_sdwa v18, v29, v18 dst_sel:DWORD dst_unused:UNUSED_PAD src0_sel:WORD_1 src1_sel:DWORD
	v_lshrrev_b32_e32 v3, 16, v4
	v_fma_f16 v24, v28, v26, v24
	v_mul_f16_sdwa v26, v28, v26 dst_sel:DWORD dst_unused:UNUSED_PAD src0_sel:WORD_1 src1_sel:DWORD
	v_fma_f16 v18, v29, v53, -v18
	v_sub_f16_e32 v20, v4, v20
	v_sub_f16_e32 v22, v8, v22
	v_sub_f16_e32 v29, v54, v55
	v_sub_f16_e32 v25, v10, v25
	v_fma_f16 v26, v28, v31, -v26
	v_sub_f16_e32 v19, v3, v19
	v_sub_f16_e32 v28, v12, v30
	v_fma_f16 v8, v8, 2.0, -v22
	v_sub_f16_e32 v23, v6, v23
	v_sub_f16_e32 v17, v33, v17
	v_fma_f16 v10, v10, 2.0, -v25
	v_add_f16_e32 v22, v20, v22
	v_add_f16_e32 v25, v29, v25
	v_fma_f16 v4, v4, 2.0, -v20
	v_fma_f16 v12, v12, 2.0, -v28
	;; [unrolled: 1-line block ×4, first 2 shown]
	v_sub_f16_e32 v28, v19, v28
	v_fma_f16 v20, v20, 2.0, -v22
	v_sub_f16_e32 v17, v23, v17
	v_fma_f16 v29, v29, 2.0, -v25
	v_lshrrev_b32_e32 v52, 16, v5
	v_fma_f16 v3, v3, 2.0, -v19
	v_fma_f16 v6, v6, 2.0, -v23
	;; [unrolled: 1-line block ×4, first 2 shown]
	v_fma_f16 v33, v29, s8, v20
	v_fma_f16 v53, v23, s8, v19
	;; [unrolled: 1-line block ×4, first 2 shown]
	v_sub_f16_e32 v15, v5, v15
	v_sub_f16_e32 v16, v52, v16
	;; [unrolled: 1-line block ×8, first 2 shown]
	v_fma_f16 v29, v29, s8, v53
	v_fma_f16 v53, v17, s9, v28
	;; [unrolled: 1-line block ×3, first 2 shown]
	v_fma_f16 v5, v5, 2.0, -v15
	v_fma_f16 v33, v52, 2.0, -v16
	;; [unrolled: 1-line block ×8, first 2 shown]
	v_sub_f16_e32 v12, v4, v12
	v_sub_f16_e32 v8, v3, v8
	;; [unrolled: 1-line block ×6, first 2 shown]
	v_add_f16_e32 v26, v15, v26
	v_sub_f16_e32 v24, v16, v24
	v_sub_f16_e32 v14, v51, v14
	;; [unrolled: 1-line block ×3, first 2 shown]
	v_add_f16_e32 v18, v32, v18
	v_sub_f16_e32 v27, v21, v27
	v_fma_f16 v4, v4, 2.0, -v12
	v_fma_f16 v3, v3, 2.0, -v8
	;; [unrolled: 1-line block ×12, first 2 shown]
	v_sub_f16_e32 v30, v4, v30
	v_sub_f16_e32 v6, v3, v6
	v_fma_f16 v25, v25, s8, v53
	v_sub_f16_e32 v51, v5, v51
	v_sub_f16_e32 v7, v33, v7
	v_fma_f16 v52, v32, s8, v15
	v_fma_f16 v53, v21, s8, v16
	v_fma_f16 v4, v4, 2.0, -v30
	v_fma_f16 v3, v3, 2.0, -v6
	;; [unrolled: 1-line block ×4, first 2 shown]
	v_fma_f16 v21, v21, s9, v52
	v_fma_f16 v32, v32, s8, v53
	v_fma_f16 v20, v20, 2.0, -v23
	v_fma_f16 v19, v19, 2.0, -v29
	v_add_f16_e32 v10, v12, v10
	v_sub_f16_e32 v31, v8, v31
	v_fma_f16 v15, v15, 2.0, -v21
	v_fma_f16 v16, v16, 2.0, -v32
	v_add_f16_e32 v11, v13, v11
	v_sub_f16_e32 v14, v9, v14
	v_fma_f16 v52, v18, s9, v26
	v_fma_f16 v53, v27, s9, v24
	v_pack_b32_f16 v3, v4, v3
	v_pack_b32_f16 v5, v5, v33
	v_fma_f16 v12, v12, 2.0, -v10
	v_fma_f16 v8, v8, 2.0, -v31
	;; [unrolled: 1-line block ×4, first 2 shown]
	v_fma_f16 v27, v27, s9, v52
	v_fma_f16 v18, v18, s8, v53
	v_pack_b32_f16 v4, v20, v19
	ds_write2st64_b32 v34, v3, v5 offset1:8
	v_pack_b32_f16 v3, v15, v16
	v_fma_f16 v22, v22, 2.0, -v17
	v_fma_f16 v28, v28, 2.0, -v25
	;; [unrolled: 1-line block ×4, first 2 shown]
	v_pack_b32_f16 v8, v12, v8
	ds_write2st64_b32 v34, v4, v3 offset0:16 offset1:24
	v_pack_b32_f16 v3, v13, v9
	v_pack_b32_f16 v12, v22, v28
	ds_write2st64_b32 v34, v8, v3 offset0:32 offset1:40
	v_pack_b32_f16 v3, v26, v24
	;; [unrolled: 3-line block ×6, first 2 shown]
	ds_write2st64_b32 v34, v17, v3 offset0:112 offset1:120
	s_waitcnt lgkmcnt(0)
	s_barrier
	ds_read2st64_b32 v[3:4], v34 offset1:8
	v_mad_u64_u32 v[5:6], s[6:7], s0, v0, 0
	s_movk_i32 s2, 0x800
	s_waitcnt lgkmcnt(0)
	v_lshrrev_b32_e32 v8, 16, v3
	v_mul_f16_sdwa v7, v40, v8 dst_sel:DWORD dst_unused:UNUSED_PAD src0_sel:WORD_1 src1_sel:DWORD
	v_fma_f16 v7, v40, v3, v7
	v_mul_f16_e32 v9, 0x800, v7
	v_mad_u64_u32 v[6:7], s[6:7], s1, v0, v[6:7]
	v_mul_f16_sdwa v0, v40, v3 dst_sel:DWORD dst_unused:UNUSED_PAD src0_sel:WORD_1 src1_sel:DWORD
	v_fma_f16 v0, v40, v8, -v0
	v_mul_f16_sdwa v0, v0, s2 dst_sel:WORD_1 dst_unused:UNUSED_PAD src0_sel:DWORD src1_sel:DWORD
	v_or_b32_e32 v3, v0, v9
	v_lshlrev_b64 v[0:1], 2, v[1:2]
	v_mov_b32_e32 v2, s5
	v_add_co_u32_e32 v7, vcc, s4, v0
	v_addc_co_u32_e32 v2, vcc, v2, v1, vcc
	v_lshlrev_b64 v[0:1], 2, v[5:6]
	s_lshl_b64 s[0:1], s[0:1], 11
	v_add_co_u32_e32 v0, vcc, v7, v0
	v_addc_co_u32_e32 v1, vcc, v2, v1, vcc
	v_lshrrev_b32_e32 v2, 16, v4
	global_store_dword v[0:1], v3, off
	v_mul_f16_sdwa v3, v37, v2 dst_sel:DWORD dst_unused:UNUSED_PAD src0_sel:WORD_1 src1_sel:DWORD
	v_fma_f16 v3, v37, v4, v3
	v_mul_f16_sdwa v4, v37, v4 dst_sel:DWORD dst_unused:UNUSED_PAD src0_sel:WORD_1 src1_sel:DWORD
	v_fma_f16 v2, v37, v2, -v4
	v_mul_f16_e32 v3, 0x800, v3
	v_mul_f16_sdwa v2, v2, s2 dst_sel:WORD_1 dst_unused:UNUSED_PAD src0_sel:DWORD src1_sel:DWORD
	v_or_b32_e32 v4, v2, v3
	ds_read2st64_b32 v[2:3], v34 offset0:16 offset1:24
	v_mov_b32_e32 v5, s1
	v_add_co_u32_e32 v0, vcc, s0, v0
	v_addc_co_u32_e32 v1, vcc, v1, v5, vcc
	global_store_dword v[0:1], v4, off
	s_waitcnt lgkmcnt(0)
	v_lshrrev_b32_e32 v4, 16, v2
	v_mul_f16_sdwa v6, v36, v4 dst_sel:DWORD dst_unused:UNUSED_PAD src0_sel:WORD_1 src1_sel:DWORD
	v_fma_f16 v6, v36, v2, v6
	v_mul_f16_sdwa v2, v36, v2 dst_sel:DWORD dst_unused:UNUSED_PAD src0_sel:WORD_1 src1_sel:DWORD
	v_fma_f16 v2, v36, v4, -v2
	v_mul_f16_e32 v6, 0x800, v6
	v_mul_f16_sdwa v2, v2, s2 dst_sel:WORD_1 dst_unused:UNUSED_PAD src0_sel:DWORD src1_sel:DWORD
	v_add_co_u32_e32 v0, vcc, s0, v0
	v_or_b32_e32 v2, v2, v6
	v_addc_co_u32_e32 v1, vcc, v1, v5, vcc
	global_store_dword v[0:1], v2, off
	v_lshrrev_b32_e32 v2, 16, v3
	v_mul_f16_sdwa v4, v50, v2 dst_sel:DWORD dst_unused:UNUSED_PAD src0_sel:WORD_1 src1_sel:DWORD
	v_fma_f16 v4, v50, v3, v4
	v_mul_f16_sdwa v3, v50, v3 dst_sel:DWORD dst_unused:UNUSED_PAD src0_sel:WORD_1 src1_sel:DWORD
	v_fma_f16 v2, v50, v2, -v3
	v_mul_f16_e32 v4, 0x800, v4
	v_mul_f16_sdwa v2, v2, s2 dst_sel:WORD_1 dst_unused:UNUSED_PAD src0_sel:DWORD src1_sel:DWORD
	v_or_b32_e32 v4, v2, v4
	ds_read2st64_b32 v[2:3], v34 offset0:32 offset1:40
	v_add_co_u32_e32 v0, vcc, s0, v0
	v_addc_co_u32_e32 v1, vcc, v1, v5, vcc
	global_store_dword v[0:1], v4, off
	s_waitcnt lgkmcnt(0)
	v_lshrrev_b32_e32 v4, 16, v2
	v_mul_f16_sdwa v6, v46, v4 dst_sel:DWORD dst_unused:UNUSED_PAD src0_sel:WORD_1 src1_sel:DWORD
	v_fma_f16 v6, v46, v2, v6
	v_mul_f16_sdwa v2, v46, v2 dst_sel:DWORD dst_unused:UNUSED_PAD src0_sel:WORD_1 src1_sel:DWORD
	v_fma_f16 v2, v46, v4, -v2
	v_mul_f16_e32 v6, 0x800, v6
	v_mul_f16_sdwa v2, v2, s2 dst_sel:WORD_1 dst_unused:UNUSED_PAD src0_sel:DWORD src1_sel:DWORD
	v_add_co_u32_e32 v0, vcc, s0, v0
	v_or_b32_e32 v2, v2, v6
	v_addc_co_u32_e32 v1, vcc, v1, v5, vcc
	global_store_dword v[0:1], v2, off
	v_lshrrev_b32_e32 v2, 16, v3
	v_mul_f16_sdwa v4, v41, v2 dst_sel:DWORD dst_unused:UNUSED_PAD src0_sel:WORD_1 src1_sel:DWORD
	v_fma_f16 v4, v41, v3, v4
	v_mul_f16_sdwa v3, v41, v3 dst_sel:DWORD dst_unused:UNUSED_PAD src0_sel:WORD_1 src1_sel:DWORD
	v_fma_f16 v2, v41, v2, -v3
	v_mul_f16_e32 v4, 0x800, v4
	v_mul_f16_sdwa v2, v2, s2 dst_sel:WORD_1 dst_unused:UNUSED_PAD src0_sel:DWORD src1_sel:DWORD
	v_or_b32_e32 v4, v2, v4
	ds_read2st64_b32 v[2:3], v34 offset0:48 offset1:56
	;; [unrolled: 24-line block ×6, first 2 shown]
	v_add_co_u32_e32 v0, vcc, s0, v0
	v_addc_co_u32_e32 v1, vcc, v1, v5, vcc
	global_store_dword v[0:1], v4, off
	s_waitcnt lgkmcnt(0)
	v_lshrrev_b32_e32 v4, 16, v2
	v_mul_f16_sdwa v6, v42, v4 dst_sel:DWORD dst_unused:UNUSED_PAD src0_sel:WORD_1 src1_sel:DWORD
	v_fma_f16 v6, v42, v2, v6
	v_mul_f16_sdwa v2, v42, v2 dst_sel:DWORD dst_unused:UNUSED_PAD src0_sel:WORD_1 src1_sel:DWORD
	v_fma_f16 v2, v42, v4, -v2
	v_mul_f16_e32 v6, 0x800, v6
	v_mul_f16_sdwa v2, v2, s2 dst_sel:WORD_1 dst_unused:UNUSED_PAD src0_sel:DWORD src1_sel:DWORD
	v_add_co_u32_e32 v0, vcc, s0, v0
	v_or_b32_e32 v2, v2, v6
	v_addc_co_u32_e32 v1, vcc, v1, v5, vcc
	global_store_dword v[0:1], v2, off
	v_lshrrev_b32_e32 v2, 16, v3
	v_mul_f16_sdwa v4, v43, v2 dst_sel:DWORD dst_unused:UNUSED_PAD src0_sel:WORD_1 src1_sel:DWORD
	v_fma_f16 v4, v43, v3, v4
	v_mul_f16_sdwa v3, v43, v3 dst_sel:DWORD dst_unused:UNUSED_PAD src0_sel:WORD_1 src1_sel:DWORD
	v_fma_f16 v2, v43, v2, -v3
	v_mul_f16_e32 v4, 0x800, v4
	v_mul_f16_sdwa v2, v2, s2 dst_sel:WORD_1 dst_unused:UNUSED_PAD src0_sel:DWORD src1_sel:DWORD
	v_add_co_u32_e32 v0, vcc, s0, v0
	v_or_b32_e32 v2, v2, v4
	v_addc_co_u32_e32 v1, vcc, v1, v5, vcc
	global_store_dword v[0:1], v2, off
.LBB0_2:
	s_endpgm
	.section	.rodata,"a",@progbits
	.p2align	6, 0x0
	.amdhsa_kernel bluestein_single_back_len8192_dim1_half_op_CI_CI
		.amdhsa_group_segment_fixed_size 32768
		.amdhsa_private_segment_fixed_size 0
		.amdhsa_kernarg_size 104
		.amdhsa_user_sgpr_count 6
		.amdhsa_user_sgpr_private_segment_buffer 1
		.amdhsa_user_sgpr_dispatch_ptr 0
		.amdhsa_user_sgpr_queue_ptr 0
		.amdhsa_user_sgpr_kernarg_segment_ptr 1
		.amdhsa_user_sgpr_dispatch_id 0
		.amdhsa_user_sgpr_flat_scratch_init 0
		.amdhsa_user_sgpr_private_segment_size 0
		.amdhsa_uses_dynamic_stack 0
		.amdhsa_system_sgpr_private_segment_wavefront_offset 0
		.amdhsa_system_sgpr_workgroup_id_x 1
		.amdhsa_system_sgpr_workgroup_id_y 0
		.amdhsa_system_sgpr_workgroup_id_z 0
		.amdhsa_system_sgpr_workgroup_info 0
		.amdhsa_system_vgpr_workitem_id 0
		.amdhsa_next_free_vgpr 103
		.amdhsa_next_free_sgpr 20
		.amdhsa_reserve_vcc 1
		.amdhsa_reserve_flat_scratch 0
		.amdhsa_float_round_mode_32 0
		.amdhsa_float_round_mode_16_64 0
		.amdhsa_float_denorm_mode_32 3
		.amdhsa_float_denorm_mode_16_64 3
		.amdhsa_dx10_clamp 1
		.amdhsa_ieee_mode 1
		.amdhsa_fp16_overflow 0
		.amdhsa_exception_fp_ieee_invalid_op 0
		.amdhsa_exception_fp_denorm_src 0
		.amdhsa_exception_fp_ieee_div_zero 0
		.amdhsa_exception_fp_ieee_overflow 0
		.amdhsa_exception_fp_ieee_underflow 0
		.amdhsa_exception_fp_ieee_inexact 0
		.amdhsa_exception_int_div_zero 0
	.end_amdhsa_kernel
	.text
.Lfunc_end0:
	.size	bluestein_single_back_len8192_dim1_half_op_CI_CI, .Lfunc_end0-bluestein_single_back_len8192_dim1_half_op_CI_CI
                                        ; -- End function
	.section	.AMDGPU.csdata,"",@progbits
; Kernel info:
; codeLenInByte = 15500
; NumSgprs: 24
; NumVgprs: 103
; ScratchSize: 0
; MemoryBound: 0
; FloatMode: 240
; IeeeMode: 1
; LDSByteSize: 32768 bytes/workgroup (compile time only)
; SGPRBlocks: 2
; VGPRBlocks: 25
; NumSGPRsForWavesPerEU: 24
; NumVGPRsForWavesPerEU: 103
; Occupancy: 2
; WaveLimiterHint : 1
; COMPUTE_PGM_RSRC2:SCRATCH_EN: 0
; COMPUTE_PGM_RSRC2:USER_SGPR: 6
; COMPUTE_PGM_RSRC2:TRAP_HANDLER: 0
; COMPUTE_PGM_RSRC2:TGID_X_EN: 1
; COMPUTE_PGM_RSRC2:TGID_Y_EN: 0
; COMPUTE_PGM_RSRC2:TGID_Z_EN: 0
; COMPUTE_PGM_RSRC2:TIDIG_COMP_CNT: 0
	.type	__hip_cuid_4253be8a8830e298,@object ; @__hip_cuid_4253be8a8830e298
	.section	.bss,"aw",@nobits
	.globl	__hip_cuid_4253be8a8830e298
__hip_cuid_4253be8a8830e298:
	.byte	0                               ; 0x0
	.size	__hip_cuid_4253be8a8830e298, 1

	.ident	"AMD clang version 19.0.0git (https://github.com/RadeonOpenCompute/llvm-project roc-6.4.0 25133 c7fe45cf4b819c5991fe208aaa96edf142730f1d)"
	.section	".note.GNU-stack","",@progbits
	.addrsig
	.addrsig_sym __hip_cuid_4253be8a8830e298
	.amdgpu_metadata
---
amdhsa.kernels:
  - .args:
      - .actual_access:  read_only
        .address_space:  global
        .offset:         0
        .size:           8
        .value_kind:     global_buffer
      - .actual_access:  read_only
        .address_space:  global
        .offset:         8
        .size:           8
        .value_kind:     global_buffer
      - .actual_access:  read_only
        .address_space:  global
        .offset:         16
        .size:           8
        .value_kind:     global_buffer
      - .actual_access:  read_only
        .address_space:  global
        .offset:         24
        .size:           8
        .value_kind:     global_buffer
      - .actual_access:  read_only
        .address_space:  global
        .offset:         32
        .size:           8
        .value_kind:     global_buffer
      - .offset:         40
        .size:           8
        .value_kind:     by_value
      - .address_space:  global
        .offset:         48
        .size:           8
        .value_kind:     global_buffer
      - .address_space:  global
        .offset:         56
        .size:           8
        .value_kind:     global_buffer
      - .address_space:  global
        .offset:         64
        .size:           8
        .value_kind:     global_buffer
      - .address_space:  global
        .offset:         72
        .size:           8
        .value_kind:     global_buffer
      - .offset:         80
        .size:           4
        .value_kind:     by_value
      - .address_space:  global
        .offset:         88
        .size:           8
        .value_kind:     global_buffer
      - .address_space:  global
        .offset:         96
        .size:           8
        .value_kind:     global_buffer
    .group_segment_fixed_size: 32768
    .kernarg_segment_align: 8
    .kernarg_segment_size: 104
    .language:       OpenCL C
    .language_version:
      - 2
      - 0
    .max_flat_workgroup_size: 512
    .name:           bluestein_single_back_len8192_dim1_half_op_CI_CI
    .private_segment_fixed_size: 0
    .sgpr_count:     24
    .sgpr_spill_count: 0
    .symbol:         bluestein_single_back_len8192_dim1_half_op_CI_CI.kd
    .uniform_work_group_size: 1
    .uses_dynamic_stack: false
    .vgpr_count:     103
    .vgpr_spill_count: 0
    .wavefront_size: 64
amdhsa.target:   amdgcn-amd-amdhsa--gfx906
amdhsa.version:
  - 1
  - 2
...

	.end_amdgpu_metadata
